;; amdgpu-corpus repo=zjin-lcf/HeCBench kind=compiled arch=gfx1250 opt=O3
	.amdgcn_target "amdgcn-amd-amdhsa--gfx1250"
	.amdhsa_code_object_version 6
	.text
	.protected	_Z17copy_to_fft_inputPVfPKfiii ; -- Begin function _Z17copy_to_fft_inputPVfPKfiii
	.globl	_Z17copy_to_fft_inputPVfPKfiii
	.p2align	8
	.type	_Z17copy_to_fft_inputPVfPKfiii,@function
_Z17copy_to_fft_inputPVfPKfiii:         ; @_Z17copy_to_fft_inputPVfPKfiii
; %bb.0:
	s_clause 0x1
	s_load_b32 s2, s[0:1], 0x2c
	s_load_b96 s[4:6], s[0:1], 0x10
	s_bfe_u32 s3, ttmp6, 0x4000c
	s_and_b32 s7, ttmp6, 15
	s_add_co_i32 s3, s3, 1
	s_getreg_b32 s8, hwreg(HW_REG_IB_STS2, 6, 4)
	s_mul_i32 s3, ttmp9, s3
	s_delay_alu instid0(SALU_CYCLE_1) | instskip(SKIP_4) | instid1(SALU_CYCLE_1)
	s_add_co_i32 s7, s7, s3
	s_wait_kmcnt 0x0
	s_and_b32 s2, s2, 0xffff
	s_cmp_eq_u32 s8, 0
	s_cselect_b32 s3, ttmp9, s7
	v_mad_u32 v0, s3, s2, v0
	s_mul_i32 s2, s5, s5
	s_delay_alu instid0(SALU_CYCLE_1)
	s_mul_i32 s3, s2, s6
	s_delay_alu instid0(VALU_DEP_1) | instid1(SALU_CYCLE_1)
	v_cmp_gt_i32_e32 vcc_lo, s3, v0
	s_and_saveexec_b32 s3, vcc_lo
	s_cbranch_execz .LBB0_2
; %bb.1:
	s_abs_i32 s3, s2
	s_delay_alu instid0(SALU_CYCLE_1) | instskip(SKIP_1) | instid1(SALU_CYCLE_2)
	s_cvt_f32_u32 s7, s3
	s_sub_co_i32 s8, 0, s3
	v_rcp_iflag_f32_e32 v1, s7
	v_nop
	s_delay_alu instid0(TRANS32_DEP_1) | instskip(SKIP_2) | instid1(VALU_DEP_1)
	v_readfirstlane_b32 s7, v1
	v_sub_nc_u32_e32 v1, 0, v0
	s_mul_f32 s7, s7, 0x4f7ffffe
	v_max_i32_e32 v1, v0, v1
	s_delay_alu instid0(SALU_CYCLE_2) | instskip(NEXT) | instid1(SALU_CYCLE_3)
	s_cvt_u32_f32 s7, s7
	s_mul_i32 s8, s8, s7
	s_delay_alu instid0(SALU_CYCLE_1) | instskip(NEXT) | instid1(SALU_CYCLE_1)
	s_mul_hi_u32 s8, s7, s8
	s_add_co_i32 s7, s7, s8
	s_delay_alu instid0(SALU_CYCLE_1) | instskip(NEXT) | instid1(VALU_DEP_1)
	v_mul_hi_u32 v2, v1, s7
	v_mul_lo_u32 v3, v2, s3
	s_delay_alu instid0(VALU_DEP_1) | instskip(NEXT) | instid1(VALU_DEP_1)
	v_dual_sub_nc_u32 v1, v1, v3 :: v_dual_add_nc_u32 v3, 1, v2
	v_cmp_le_u32_e32 vcc_lo, s3, v1
	s_delay_alu instid0(VALU_DEP_2) | instskip(SKIP_1) | instid1(VALU_DEP_1)
	v_dual_cndmask_b32 v2, v2, v3, vcc_lo :: v_dual_bitop2_b32 v3, s2, v0 bitop3:0x14
	v_subrev_nc_u32_e32 v4, s3, v1
	v_dual_cndmask_b32 v1, v1, v4 :: v_dual_add_nc_u32 v4, 1, v2
	s_delay_alu instid0(VALU_DEP_1) | instskip(NEXT) | instid1(VALU_DEP_2)
	v_cmp_le_u32_e32 vcc_lo, s3, v1
	v_dual_ashrrev_i32 v3, 31, v3 :: v_dual_cndmask_b32 v1, v2, v4, vcc_lo
	s_delay_alu instid0(VALU_DEP_1) | instskip(NEXT) | instid1(VALU_DEP_1)
	v_xor_b32_e32 v1, v1, v3
	v_sub_nc_u32_e32 v1, v1, v3
	s_delay_alu instid0(VALU_DEP_1) | instskip(SKIP_1) | instid1(VALU_DEP_1)
	v_mul_lo_u32 v2, v1, s2
	s_load_b128 s[0:3], s[0:1], 0x0
	v_sub_nc_u32_e32 v0, v0, v2
	s_delay_alu instid0(VALU_DEP_1) | instskip(SKIP_4) | instid1(SALU_CYCLE_1)
	v_mad_u32 v2, v0, s6, v1
	s_wait_kmcnt 0x0
	global_load_b32 v2, v2, s[2:3] scale_offset
	s_wait_xcnt 0x0
	s_abs_i32 s2, s5
	s_cvt_f32_u32 s3, s2
	s_sub_co_i32 s6, 0, s2
	s_delay_alu instid0(SALU_CYCLE_2) | instskip(SKIP_1) | instid1(TRANS32_DEP_1)
	v_rcp_iflag_f32_e32 v3, s3
	v_nop
	v_readfirstlane_b32 s3, v3
	v_sub_nc_u32_e32 v3, 0, v0
	s_mul_f32 s3, s3, 0x4f7ffffe
	s_delay_alu instid0(VALU_DEP_1) | instskip(NEXT) | instid1(SALU_CYCLE_2)
	v_max_i32_e32 v3, v0, v3
	s_cvt_u32_f32 s3, s3
	s_delay_alu instid0(SALU_CYCLE_3) | instskip(NEXT) | instid1(SALU_CYCLE_1)
	s_mul_i32 s6, s6, s3
	s_mul_hi_u32 s6, s3, s6
	s_delay_alu instid0(SALU_CYCLE_1) | instskip(NEXT) | instid1(SALU_CYCLE_1)
	s_add_co_i32 s3, s3, s6
	v_mul_hi_u32 v4, v3, s3
	s_delay_alu instid0(VALU_DEP_1) | instskip(NEXT) | instid1(VALU_DEP_1)
	v_mul_lo_u32 v5, v4, s2
	v_dual_sub_nc_u32 v3, v3, v5 :: v_dual_add_nc_u32 v5, 1, v4
	s_delay_alu instid0(VALU_DEP_1) | instskip(NEXT) | instid1(VALU_DEP_2)
	v_cmp_le_u32_e32 vcc_lo, s2, v3
	v_cndmask_b32_e32 v4, v4, v5, vcc_lo
	v_subrev_nc_u32_e32 v6, s2, v3
	s_delay_alu instid0(VALU_DEP_1) | instskip(NEXT) | instid1(VALU_DEP_1)
	v_dual_cndmask_b32 v3, v3, v6, vcc_lo :: v_dual_bitop2_b32 v5, s5, v0 bitop3:0x14
	v_dual_add_nc_u32 v6, 1, v4 :: v_dual_ashrrev_i32 v5, 31, v5
	s_delay_alu instid0(VALU_DEP_2) | instskip(NEXT) | instid1(VALU_DEP_2)
	v_cmp_le_u32_e32 vcc_lo, s2, v3
	v_cndmask_b32_e32 v3, v4, v6, vcc_lo
	s_delay_alu instid0(VALU_DEP_1) | instskip(NEXT) | instid1(VALU_DEP_1)
	v_xor_b32_e32 v3, v3, v5
	v_sub_nc_u32_e32 v3, v3, v5
	s_delay_alu instid0(VALU_DEP_1) | instskip(SKIP_1) | instid1(VALU_DEP_2)
	v_mul_lo_u32 v4, v3, s5
	v_mad_u32 v1, v1, s4, v3
	v_sub_nc_u32_e32 v0, v0, v4
	s_delay_alu instid0(VALU_DEP_1)
	v_mad_u32 v0, v1, s4, v0
	s_wait_loadcnt 0x0
	flat_store_b32 v0, v2, s[0:1] scale_offset scope:SCOPE_SYS
	s_wait_storecnt 0x0
.LBB0_2:
	s_endpgm
	.section	.rodata,"a",@progbits
	.p2align	6, 0x0
	.amdhsa_kernel _Z17copy_to_fft_inputPVfPKfiii
		.amdhsa_group_segment_fixed_size 0
		.amdhsa_private_segment_fixed_size 0
		.amdhsa_kernarg_size 288
		.amdhsa_user_sgpr_count 2
		.amdhsa_user_sgpr_dispatch_ptr 0
		.amdhsa_user_sgpr_queue_ptr 0
		.amdhsa_user_sgpr_kernarg_segment_ptr 1
		.amdhsa_user_sgpr_dispatch_id 0
		.amdhsa_user_sgpr_kernarg_preload_length 0
		.amdhsa_user_sgpr_kernarg_preload_offset 0
		.amdhsa_user_sgpr_private_segment_size 0
		.amdhsa_wavefront_size32 1
		.amdhsa_uses_dynamic_stack 0
		.amdhsa_enable_private_segment 0
		.amdhsa_system_sgpr_workgroup_id_x 1
		.amdhsa_system_sgpr_workgroup_id_y 0
		.amdhsa_system_sgpr_workgroup_id_z 0
		.amdhsa_system_sgpr_workgroup_info 0
		.amdhsa_system_vgpr_workitem_id 0
		.amdhsa_next_free_vgpr 7
		.amdhsa_next_free_sgpr 9
		.amdhsa_named_barrier_count 0
		.amdhsa_reserve_vcc 1
		.amdhsa_float_round_mode_32 0
		.amdhsa_float_round_mode_16_64 0
		.amdhsa_float_denorm_mode_32 3
		.amdhsa_float_denorm_mode_16_64 3
		.amdhsa_fp16_overflow 0
		.amdhsa_memory_ordered 1
		.amdhsa_forward_progress 1
		.amdhsa_inst_pref_size 5
		.amdhsa_round_robin_scheduling 0
		.amdhsa_exception_fp_ieee_invalid_op 0
		.amdhsa_exception_fp_denorm_src 0
		.amdhsa_exception_fp_ieee_div_zero 0
		.amdhsa_exception_fp_ieee_overflow 0
		.amdhsa_exception_fp_ieee_underflow 0
		.amdhsa_exception_fp_ieee_inexact 0
		.amdhsa_exception_int_div_zero 0
	.end_amdhsa_kernel
	.text
.Lfunc_end0:
	.size	_Z17copy_to_fft_inputPVfPKfiii, .Lfunc_end0-_Z17copy_to_fft_inputPVfPKfiii
                                        ; -- End function
	.set _Z17copy_to_fft_inputPVfPKfiii.num_vgpr, 7
	.set _Z17copy_to_fft_inputPVfPKfiii.num_agpr, 0
	.set _Z17copy_to_fft_inputPVfPKfiii.numbered_sgpr, 9
	.set _Z17copy_to_fft_inputPVfPKfiii.num_named_barrier, 0
	.set _Z17copy_to_fft_inputPVfPKfiii.private_seg_size, 0
	.set _Z17copy_to_fft_inputPVfPKfiii.uses_vcc, 1
	.set _Z17copy_to_fft_inputPVfPKfiii.uses_flat_scratch, 0
	.set _Z17copy_to_fft_inputPVfPKfiii.has_dyn_sized_stack, 0
	.set _Z17copy_to_fft_inputPVfPKfiii.has_recursion, 0
	.set _Z17copy_to_fft_inputPVfPKfiii.has_indirect_call, 0
	.section	.AMDGPU.csdata,"",@progbits
; Kernel info:
; codeLenInByte = 568
; TotalNumSgprs: 11
; NumVgprs: 7
; ScratchSize: 0
; MemoryBound: 0
; FloatMode: 240
; IeeeMode: 1
; LDSByteSize: 0 bytes/workgroup (compile time only)
; SGPRBlocks: 0
; VGPRBlocks: 0
; NumSGPRsForWavesPerEU: 11
; NumVGPRsForWavesPerEU: 7
; NamedBarCnt: 0
; Occupancy: 16
; WaveLimiterHint : 0
; COMPUTE_PGM_RSRC2:SCRATCH_EN: 0
; COMPUTE_PGM_RSRC2:USER_SGPR: 2
; COMPUTE_PGM_RSRC2:TRAP_HANDLER: 0
; COMPUTE_PGM_RSRC2:TGID_X_EN: 1
; COMPUTE_PGM_RSRC2:TGID_Y_EN: 0
; COMPUTE_PGM_RSRC2:TGID_Z_EN: 0
; COMPUTE_PGM_RSRC2:TIDIG_COMP_CNT: 0
	.text
	.protected	_Z20copy_from_fft_outputPVfPKfiii ; -- Begin function _Z20copy_from_fft_outputPVfPKfiii
	.globl	_Z20copy_from_fft_outputPVfPKfiii
	.p2align	8
	.type	_Z20copy_from_fft_outputPVfPKfiii,@function
_Z20copy_from_fft_outputPVfPKfiii:      ; @_Z20copy_from_fft_outputPVfPKfiii
; %bb.0:
	s_clause 0x1
	s_load_b32 s2, s[0:1], 0x2c
	s_load_b96 s[4:6], s[0:1], 0x10
	s_bfe_u32 s3, ttmp6, 0x4000c
	s_and_b32 s7, ttmp6, 15
	s_add_co_i32 s3, s3, 1
	s_getreg_b32 s8, hwreg(HW_REG_IB_STS2, 6, 4)
	s_mul_i32 s3, ttmp9, s3
	s_delay_alu instid0(SALU_CYCLE_1) | instskip(SKIP_4) | instid1(SALU_CYCLE_1)
	s_add_co_i32 s7, s7, s3
	s_wait_kmcnt 0x0
	s_and_b32 s2, s2, 0xffff
	s_cmp_eq_u32 s8, 0
	s_cselect_b32 s3, ttmp9, s7
	v_mad_u32 v0, s3, s2, v0
	s_mul_i32 s2, s5, s5
	s_delay_alu instid0(SALU_CYCLE_1)
	s_mul_i32 s3, s2, s6
	s_delay_alu instid0(VALU_DEP_1) | instid1(SALU_CYCLE_1)
	v_cmp_gt_i32_e32 vcc_lo, s3, v0
	s_and_saveexec_b32 s3, vcc_lo
	s_cbranch_execz .LBB1_2
; %bb.1:
	s_abs_i32 s3, s2
	s_delay_alu instid0(SALU_CYCLE_1) | instskip(SKIP_1) | instid1(SALU_CYCLE_2)
	s_cvt_f32_u32 s7, s3
	s_sub_co_i32 s8, 0, s3
	v_rcp_iflag_f32_e32 v1, s7
	v_nop
	s_delay_alu instid0(TRANS32_DEP_1) | instskip(SKIP_2) | instid1(VALU_DEP_1)
	v_readfirstlane_b32 s7, v1
	v_sub_nc_u32_e32 v1, 0, v0
	s_mul_f32 s7, s7, 0x4f7ffffe
	v_max_i32_e32 v1, v0, v1
	s_delay_alu instid0(SALU_CYCLE_2) | instskip(NEXT) | instid1(SALU_CYCLE_3)
	s_cvt_u32_f32 s7, s7
	s_mul_i32 s8, s8, s7
	s_delay_alu instid0(SALU_CYCLE_1) | instskip(NEXT) | instid1(SALU_CYCLE_1)
	s_mul_hi_u32 s8, s7, s8
	s_add_co_i32 s7, s7, s8
	s_delay_alu instid0(SALU_CYCLE_1) | instskip(NEXT) | instid1(VALU_DEP_1)
	v_mul_hi_u32 v2, v1, s7
	v_mul_lo_u32 v3, v2, s3
	s_delay_alu instid0(VALU_DEP_1) | instskip(NEXT) | instid1(VALU_DEP_1)
	v_dual_sub_nc_u32 v1, v1, v3 :: v_dual_add_nc_u32 v3, 1, v2
	v_cmp_le_u32_e32 vcc_lo, s3, v1
	s_delay_alu instid0(VALU_DEP_2) | instskip(SKIP_1) | instid1(VALU_DEP_1)
	v_dual_cndmask_b32 v2, v2, v3, vcc_lo :: v_dual_bitop2_b32 v3, s2, v0 bitop3:0x14
	v_subrev_nc_u32_e32 v4, s3, v1
	v_dual_cndmask_b32 v1, v1, v4 :: v_dual_add_nc_u32 v4, 1, v2
	s_delay_alu instid0(VALU_DEP_1) | instskip(NEXT) | instid1(VALU_DEP_4)
	v_cmp_le_u32_e32 vcc_lo, s3, v1
	v_ashrrev_i32_e32 v3, 31, v3
	s_abs_i32 s3, s5
	s_delay_alu instid0(SALU_CYCLE_1) | instskip(SKIP_1) | instid1(SALU_CYCLE_2)
	s_cvt_f32_u32 s7, s3
	v_cndmask_b32_e32 v1, v2, v4, vcc_lo
	v_rcp_iflag_f32_e32 v2, s7
	s_sub_co_i32 s7, 0, s3
	s_delay_alu instid0(VALU_DEP_1) | instskip(NEXT) | instid1(VALU_DEP_1)
	v_xor_b32_e32 v1, v1, v3
	v_sub_nc_u32_e32 v1, v1, v3
	s_delay_alu instid0(VALU_DEP_1) | instskip(NEXT) | instid1(TRANS32_DEP_1)
	v_mul_lo_u32 v3, v1, s2
	v_readfirstlane_b32 s2, v2
	s_mul_f32 s2, s2, 0x4f7ffffe
	s_delay_alu instid0(SALU_CYCLE_3) | instskip(SKIP_1) | instid1(SALU_CYCLE_2)
	s_cvt_u32_f32 s2, s2
	v_sub_nc_u32_e32 v0, v0, v3
	s_mul_i32 s7, s7, s2
	s_delay_alu instid0(VALU_DEP_1) | instskip(SKIP_1) | instid1(SALU_CYCLE_1)
	v_sub_nc_u32_e32 v2, 0, v0
	s_mul_hi_u32 s7, s2, s7
	s_add_co_i32 s2, s2, s7
	s_mul_i32 s7, s4, s4
	s_delay_alu instid0(VALU_DEP_1) | instskip(NEXT) | instid1(VALU_DEP_1)
	v_max_i32_e32 v2, v0, v2
	v_mul_hi_u32 v3, v2, s2
	s_delay_alu instid0(VALU_DEP_1) | instskip(NEXT) | instid1(VALU_DEP_1)
	v_mul_lo_u32 v4, v3, s3
	v_dual_sub_nc_u32 v2, v2, v4 :: v_dual_add_nc_u32 v4, 1, v3
	s_delay_alu instid0(VALU_DEP_1) | instskip(NEXT) | instid1(VALU_DEP_2)
	v_cmp_le_u32_e32 vcc_lo, s3, v2
	v_cndmask_b32_e32 v3, v3, v4, vcc_lo
	v_subrev_nc_u32_e32 v5, s3, v2
	s_delay_alu instid0(VALU_DEP_1) | instskip(NEXT) | instid1(VALU_DEP_1)
	v_dual_cndmask_b32 v2, v2, v5, vcc_lo :: v_dual_bitop2_b32 v4, s5, v0 bitop3:0x14
	v_dual_add_nc_u32 v5, 1, v3 :: v_dual_ashrrev_i32 v4, 31, v4
	s_delay_alu instid0(VALU_DEP_2) | instskip(SKIP_1) | instid1(VALU_DEP_2)
	v_cmp_le_u32_e32 vcc_lo, s3, v2
	s_load_b128 s[0:3], s[0:1], 0x0
	v_cndmask_b32_e32 v2, v3, v5, vcc_lo
	s_delay_alu instid0(VALU_DEP_1) | instskip(NEXT) | instid1(VALU_DEP_1)
	v_xor_b32_e32 v2, v2, v4
	v_sub_nc_u32_e32 v2, v2, v4
	v_mul_lo_u32 v4, v1, s7
	s_delay_alu instid0(VALU_DEP_2) | instskip(NEXT) | instid1(VALU_DEP_1)
	v_mul_lo_u32 v3, v2, s5
	v_dual_add_nc_u32 v2, s5, v2 :: v_dual_sub_nc_u32 v3, v0, v3
	v_mad_u32 v0, v0, s6, v1
	s_delay_alu instid0(VALU_DEP_2) | instskip(NEXT) | instid1(VALU_DEP_1)
	v_add3_u32 v3, v4, s5, v3
	v_mad_u32 v2, v2, s4, v3
	s_wait_kmcnt 0x0
	global_load_b32 v2, v2, s[2:3] scale_offset
	s_wait_xcnt 0x0
	s_cvt_f32_u32 s2, s7
	s_wait_loadcnt 0x0
	s_delay_alu instid0(SALU_CYCLE_2) | instskip(NEXT) | instid1(VALU_DEP_1)
	v_div_scale_f32 v3, null, s2, s2, v2
	v_rcp_f32_e32 v4, v3
	v_nop
	s_delay_alu instid0(TRANS32_DEP_1) | instskip(NEXT) | instid1(VALU_DEP_1)
	v_fma_f32 v5, -v3, v4, 1.0
	v_fmac_f32_e32 v4, v5, v4
	v_div_scale_f32 v5, vcc_lo, v2, s2, v2
	s_delay_alu instid0(VALU_DEP_1) | instskip(NEXT) | instid1(VALU_DEP_1)
	v_mul_f32_e32 v6, v5, v4
	v_fma_f32 v7, -v3, v6, v5
	s_delay_alu instid0(VALU_DEP_1) | instskip(NEXT) | instid1(VALU_DEP_1)
	v_fmac_f32_e32 v6, v7, v4
	v_fma_f32 v3, -v3, v6, v5
	s_delay_alu instid0(VALU_DEP_1) | instskip(NEXT) | instid1(VALU_DEP_1)
	v_div_fmas_f32 v1, v3, v4, v6
	v_div_fixup_f32 v1, v1, s2, v2
	flat_store_b32 v0, v1, s[0:1] scale_offset scope:SCOPE_SYS
	s_wait_storecnt 0x0
.LBB1_2:
	s_endpgm
	.section	.rodata,"a",@progbits
	.p2align	6, 0x0
	.amdhsa_kernel _Z20copy_from_fft_outputPVfPKfiii
		.amdhsa_group_segment_fixed_size 0
		.amdhsa_private_segment_fixed_size 0
		.amdhsa_kernarg_size 288
		.amdhsa_user_sgpr_count 2
		.amdhsa_user_sgpr_dispatch_ptr 0
		.amdhsa_user_sgpr_queue_ptr 0
		.amdhsa_user_sgpr_kernarg_segment_ptr 1
		.amdhsa_user_sgpr_dispatch_id 0
		.amdhsa_user_sgpr_kernarg_preload_length 0
		.amdhsa_user_sgpr_kernarg_preload_offset 0
		.amdhsa_user_sgpr_private_segment_size 0
		.amdhsa_wavefront_size32 1
		.amdhsa_uses_dynamic_stack 0
		.amdhsa_enable_private_segment 0
		.amdhsa_system_sgpr_workgroup_id_x 1
		.amdhsa_system_sgpr_workgroup_id_y 0
		.amdhsa_system_sgpr_workgroup_id_z 0
		.amdhsa_system_sgpr_workgroup_info 0
		.amdhsa_system_vgpr_workitem_id 0
		.amdhsa_next_free_vgpr 8
		.amdhsa_next_free_sgpr 9
		.amdhsa_named_barrier_count 0
		.amdhsa_reserve_vcc 1
		.amdhsa_float_round_mode_32 0
		.amdhsa_float_round_mode_16_64 0
		.amdhsa_float_denorm_mode_32 3
		.amdhsa_float_denorm_mode_16_64 3
		.amdhsa_fp16_overflow 0
		.amdhsa_memory_ordered 1
		.amdhsa_forward_progress 1
		.amdhsa_inst_pref_size 6
		.amdhsa_round_robin_scheduling 0
		.amdhsa_exception_fp_ieee_invalid_op 0
		.amdhsa_exception_fp_denorm_src 0
		.amdhsa_exception_fp_ieee_div_zero 0
		.amdhsa_exception_fp_ieee_overflow 0
		.amdhsa_exception_fp_ieee_underflow 0
		.amdhsa_exception_fp_ieee_inexact 0
		.amdhsa_exception_int_div_zero 0
	.end_amdhsa_kernel
	.text
.Lfunc_end1:
	.size	_Z20copy_from_fft_outputPVfPKfiii, .Lfunc_end1-_Z20copy_from_fft_outputPVfPKfiii
                                        ; -- End function
	.set _Z20copy_from_fft_outputPVfPKfiii.num_vgpr, 8
	.set _Z20copy_from_fft_outputPVfPKfiii.num_agpr, 0
	.set _Z20copy_from_fft_outputPVfPKfiii.numbered_sgpr, 9
	.set _Z20copy_from_fft_outputPVfPKfiii.num_named_barrier, 0
	.set _Z20copy_from_fft_outputPVfPKfiii.private_seg_size, 0
	.set _Z20copy_from_fft_outputPVfPKfiii.uses_vcc, 1
	.set _Z20copy_from_fft_outputPVfPKfiii.uses_flat_scratch, 0
	.set _Z20copy_from_fft_outputPVfPKfiii.has_dyn_sized_stack, 0
	.set _Z20copy_from_fft_outputPVfPKfiii.has_recursion, 0
	.set _Z20copy_from_fft_outputPVfPKfiii.has_indirect_call, 0
	.section	.AMDGPU.csdata,"",@progbits
; Kernel info:
; codeLenInByte = 676
; TotalNumSgprs: 11
; NumVgprs: 8
; ScratchSize: 0
; MemoryBound: 0
; FloatMode: 240
; IeeeMode: 1
; LDSByteSize: 0 bytes/workgroup (compile time only)
; SGPRBlocks: 0
; VGPRBlocks: 0
; NumSGPRsForWavesPerEU: 11
; NumVGPRsForWavesPerEU: 8
; NamedBarCnt: 0
; Occupancy: 16
; WaveLimiterHint : 0
; COMPUTE_PGM_RSRC2:SCRATCH_EN: 0
; COMPUTE_PGM_RSRC2:USER_SGPR: 2
; COMPUTE_PGM_RSRC2:TRAP_HANDLER: 0
; COMPUTE_PGM_RSRC2:TGID_X_EN: 1
; COMPUTE_PGM_RSRC2:TGID_Y_EN: 0
; COMPUTE_PGM_RSRC2:TGID_Z_EN: 0
; COMPUTE_PGM_RSRC2:TIDIG_COMP_CNT: 0
	.text
	.protected	_Z21compute_point_box_idxPViPVfS2_PKfS4_S4_ffiii ; -- Begin function _Z21compute_point_box_idxPViPVfS2_PKfS4_S4_ffiii
	.globl	_Z21compute_point_box_idxPViPVfS2_PKfS4_S4_ffiii
	.p2align	8
	.type	_Z21compute_point_box_idxPViPVfS2_PKfS4_S4_ffiii,@function
_Z21compute_point_box_idxPViPVfS2_PKfS4_S4_ffiii: ; @_Z21compute_point_box_idxPViPVfS2_PKfS4_S4_ffiii
; %bb.0:
	s_clause 0x1
	s_load_b32 s2, s[0:1], 0x54
	s_load_b32 s3, s[0:1], 0x40
	s_bfe_u32 s4, ttmp6, 0x4000c
	s_and_b32 s5, ttmp6, 15
	s_add_co_i32 s4, s4, 1
	s_getreg_b32 s6, hwreg(HW_REG_IB_STS2, 6, 4)
	s_mul_i32 s4, ttmp9, s4
	s_delay_alu instid0(SALU_CYCLE_1) | instskip(SKIP_4) | instid1(SALU_CYCLE_1)
	s_add_co_i32 s5, s5, s4
	s_wait_kmcnt 0x0
	s_and_b32 s2, s2, 0xffff
	s_cmp_eq_u32 s6, 0
	s_cselect_b32 s4, ttmp9, s5
	v_mad_u32 v0, s4, s2, v0
	s_mov_b32 s2, exec_lo
	s_delay_alu instid0(VALU_DEP_1)
	v_cmpx_gt_i32_e64 s3, v0
	s_cbranch_execz .LBB2_2
; %bb.1:
	s_clause 0x1
	s_load_b128 s[4:7], s[0:1], 0x18
	s_load_b64 s[12:13], s[0:1], 0x28
	s_wait_kmcnt 0x0
	s_clause 0x1
	global_load_b32 v1, v0, s[4:5] scale_offset
	global_load_b32 v4, v0, s[6:7] scale_offset
	s_wait_xcnt 0x0
	s_clause 0x1
	s_load_b128 s[4:7], s[0:1], 0x30
	s_load_b128 s[8:11], s[0:1], 0x0
	s_wait_kmcnt 0x0
	s_ashr_i32 s3, s7, 31
	s_load_b64 s[0:1], s[0:1], 0x10
	s_wait_loadcnt 0x0
	v_dual_subrev_f32 v2, s4, v1 :: v_dual_subrev_f32 v3, s4, v4
	s_delay_alu instid0(VALU_DEP_1) | instskip(NEXT) | instid1(VALU_DEP_2)
	v_div_scale_f32 v5, null, s5, s5, v2
	v_div_scale_f32 v6, null, s5, s5, v3
	v_div_scale_f32 v11, vcc_lo, v2, s5, v2
	s_delay_alu instid0(VALU_DEP_3) | instskip(NEXT) | instid1(VALU_DEP_2)
	v_rcp_f32_e32 v7, v5
	v_rcp_f32_e32 v8, v6
	s_delay_alu instid0(TRANS32_DEP_2) | instskip(NEXT) | instid1(TRANS32_DEP_1)
	v_fma_f32 v9, -v5, v7, 1.0
	v_fma_f32 v10, -v6, v8, 1.0
	s_delay_alu instid0(VALU_DEP_1) | instskip(SKIP_1) | instid1(VALU_DEP_1)
	v_dual_fmac_f32 v7, v9, v7 :: v_dual_fmac_f32 v8, v10, v8
	v_div_scale_f32 v9, s2, v3, s5, v3
	v_dual_mul_f32 v10, v11, v7 :: v_dual_mul_f32 v12, v9, v8
	s_delay_alu instid0(VALU_DEP_1) | instskip(NEXT) | instid1(VALU_DEP_1)
	v_dual_fma_f32 v13, -v5, v10, v11 :: v_dual_fma_f32 v14, -v6, v12, v9
	v_dual_fmac_f32 v10, v13, v7 :: v_dual_fmac_f32 v12, v14, v8
	s_delay_alu instid0(VALU_DEP_1) | instskip(NEXT) | instid1(VALU_DEP_1)
	v_dual_fma_f32 v5, -v5, v10, v11 :: v_dual_fma_f32 v6, -v6, v12, v9
	v_div_fmas_f32 v5, v5, v7, v10
	s_mov_b32 vcc_lo, s2
	s_add_co_i32 s2, s6, -1
	s_delay_alu instid0(VALU_DEP_2) | instskip(NEXT) | instid1(VALU_DEP_2)
	v_div_fmas_f32 v6, v6, v8, v12
	v_div_fixup_f32 v2, v5, s5, v2
	s_delay_alu instid0(VALU_DEP_2) | instskip(NEXT) | instid1(VALU_DEP_2)
	v_div_fixup_f32 v3, v6, s5, v3
	v_cvt_i32_f32_e32 v2, v2
	s_delay_alu instid0(VALU_DEP_2) | instskip(NEXT) | instid1(VALU_DEP_2)
	v_cvt_i32_f32_e32 v3, v3
	v_maxmin_i32 v2, v2, 0, s2
	s_delay_alu instid0(VALU_DEP_2) | instskip(SKIP_1) | instid1(VALU_DEP_1)
	v_maxmin_i32 v3, v3, 0, s2
	s_mov_b32 s2, s7
	v_mad_u32 v2, v3, s6, v2
	flat_store_b32 v0, v2, s[8:9] scale_offset scope:SCOPE_SYS
	s_wait_storecnt 0x0
	global_load_b32 v3, v2, s[12:13] scale_offset
	s_wait_loadcnt 0x0
	v_sub_f32_e32 v1, v1, v3
	s_delay_alu instid0(VALU_DEP_1) | instskip(NEXT) | instid1(VALU_DEP_1)
	v_div_scale_f32 v3, null, s5, s5, v1
	v_rcp_f32_e32 v5, v3
	v_nop
	s_delay_alu instid0(TRANS32_DEP_1) | instskip(NEXT) | instid1(VALU_DEP_1)
	v_fma_f32 v6, -v3, v5, 1.0
	v_fmac_f32_e32 v5, v6, v5
	v_div_scale_f32 v7, vcc_lo, v1, s5, v1
	s_delay_alu instid0(VALU_DEP_1) | instskip(NEXT) | instid1(VALU_DEP_1)
	v_mul_f32_e32 v6, v7, v5
	v_fma_f32 v8, -v3, v6, v7
	s_delay_alu instid0(VALU_DEP_1) | instskip(NEXT) | instid1(VALU_DEP_1)
	v_fmac_f32_e32 v6, v8, v5
	v_fma_f32 v7, -v3, v6, v7
	v_ashrrev_i32_e32 v3, 31, v2
	s_delay_alu instid0(VALU_DEP_2) | instskip(NEXT) | instid1(VALU_DEP_2)
	v_div_fmas_f32 v5, v7, v5, v6
	v_lshl_add_u64 v[2:3], v[2:3], 2, s[12:13]
	s_delay_alu instid0(VALU_DEP_2) | instskip(NEXT) | instid1(VALU_DEP_2)
	v_div_fixup_f32 v1, v5, s5, v1
	v_lshl_add_u64 v[2:3], s[2:3], 2, v[2:3]
	flat_store_b32 v0, v1, s[10:11] scale_offset scope:SCOPE_SYS
	s_wait_storecnt 0x0
	global_load_b32 v1, v[2:3], off
	s_wait_loadcnt 0x0
	v_sub_f32_e32 v1, v4, v1
	s_delay_alu instid0(VALU_DEP_1) | instskip(NEXT) | instid1(VALU_DEP_1)
	v_div_scale_f32 v2, null, s5, s5, v1
	v_rcp_f32_e32 v3, v2
	v_nop
	s_delay_alu instid0(TRANS32_DEP_1) | instskip(NEXT) | instid1(VALU_DEP_1)
	v_fma_f32 v4, -v2, v3, 1.0
	v_fmac_f32_e32 v3, v4, v3
	v_div_scale_f32 v4, vcc_lo, v1, s5, v1
	s_delay_alu instid0(VALU_DEP_1) | instskip(NEXT) | instid1(VALU_DEP_1)
	v_mul_f32_e32 v5, v4, v3
	v_fma_f32 v6, -v2, v5, v4
	s_delay_alu instid0(VALU_DEP_1) | instskip(NEXT) | instid1(VALU_DEP_1)
	v_fmac_f32_e32 v5, v6, v3
	v_fma_f32 v2, -v2, v5, v4
	s_delay_alu instid0(VALU_DEP_1) | instskip(NEXT) | instid1(VALU_DEP_1)
	v_div_fmas_f32 v2, v2, v3, v5
	v_div_fixup_f32 v1, v2, s5, v1
	s_wait_kmcnt 0x0
	flat_store_b32 v0, v1, s[0:1] scale_offset scope:SCOPE_SYS
	s_wait_storecnt 0x0
.LBB2_2:
	s_endpgm
	.section	.rodata,"a",@progbits
	.p2align	6, 0x0
	.amdhsa_kernel _Z21compute_point_box_idxPViPVfS2_PKfS4_S4_ffiii
		.amdhsa_group_segment_fixed_size 0
		.amdhsa_private_segment_fixed_size 0
		.amdhsa_kernarg_size 328
		.amdhsa_user_sgpr_count 2
		.amdhsa_user_sgpr_dispatch_ptr 0
		.amdhsa_user_sgpr_queue_ptr 0
		.amdhsa_user_sgpr_kernarg_segment_ptr 1
		.amdhsa_user_sgpr_dispatch_id 0
		.amdhsa_user_sgpr_kernarg_preload_length 0
		.amdhsa_user_sgpr_kernarg_preload_offset 0
		.amdhsa_user_sgpr_private_segment_size 0
		.amdhsa_wavefront_size32 1
		.amdhsa_uses_dynamic_stack 0
		.amdhsa_enable_private_segment 0
		.amdhsa_system_sgpr_workgroup_id_x 1
		.amdhsa_system_sgpr_workgroup_id_y 0
		.amdhsa_system_sgpr_workgroup_id_z 0
		.amdhsa_system_sgpr_workgroup_info 0
		.amdhsa_system_vgpr_workitem_id 0
		.amdhsa_next_free_vgpr 15
		.amdhsa_next_free_sgpr 14
		.amdhsa_named_barrier_count 0
		.amdhsa_reserve_vcc 1
		.amdhsa_float_round_mode_32 0
		.amdhsa_float_round_mode_16_64 0
		.amdhsa_float_denorm_mode_32 3
		.amdhsa_float_denorm_mode_16_64 3
		.amdhsa_fp16_overflow 0
		.amdhsa_memory_ordered 1
		.amdhsa_forward_progress 1
		.amdhsa_inst_pref_size 6
		.amdhsa_round_robin_scheduling 0
		.amdhsa_exception_fp_ieee_invalid_op 0
		.amdhsa_exception_fp_denorm_src 0
		.amdhsa_exception_fp_ieee_div_zero 0
		.amdhsa_exception_fp_ieee_overflow 0
		.amdhsa_exception_fp_ieee_underflow 0
		.amdhsa_exception_fp_ieee_inexact 0
		.amdhsa_exception_int_div_zero 0
	.end_amdhsa_kernel
	.text
.Lfunc_end2:
	.size	_Z21compute_point_box_idxPViPVfS2_PKfS4_S4_ffiii, .Lfunc_end2-_Z21compute_point_box_idxPViPVfS2_PKfS4_S4_ffiii
                                        ; -- End function
	.set _Z21compute_point_box_idxPViPVfS2_PKfS4_S4_ffiii.num_vgpr, 15
	.set _Z21compute_point_box_idxPViPVfS2_PKfS4_S4_ffiii.num_agpr, 0
	.set _Z21compute_point_box_idxPViPVfS2_PKfS4_S4_ffiii.numbered_sgpr, 14
	.set _Z21compute_point_box_idxPViPVfS2_PKfS4_S4_ffiii.num_named_barrier, 0
	.set _Z21compute_point_box_idxPViPVfS2_PKfS4_S4_ffiii.private_seg_size, 0
	.set _Z21compute_point_box_idxPViPVfS2_PKfS4_S4_ffiii.uses_vcc, 1
	.set _Z21compute_point_box_idxPViPVfS2_PKfS4_S4_ffiii.uses_flat_scratch, 0
	.set _Z21compute_point_box_idxPViPVfS2_PKfS4_S4_ffiii.has_dyn_sized_stack, 0
	.set _Z21compute_point_box_idxPViPVfS2_PKfS4_S4_ffiii.has_recursion, 0
	.set _Z21compute_point_box_idxPViPVfS2_PKfS4_S4_ffiii.has_indirect_call, 0
	.section	.AMDGPU.csdata,"",@progbits
; Kernel info:
; codeLenInByte = 744
; TotalNumSgprs: 16
; NumVgprs: 15
; ScratchSize: 0
; MemoryBound: 0
; FloatMode: 240
; IeeeMode: 1
; LDSByteSize: 0 bytes/workgroup (compile time only)
; SGPRBlocks: 0
; VGPRBlocks: 0
; NumSGPRsForWavesPerEU: 16
; NumVGPRsForWavesPerEU: 15
; NamedBarCnt: 0
; Occupancy: 16
; WaveLimiterHint : 0
; COMPUTE_PGM_RSRC2:SCRATCH_EN: 0
; COMPUTE_PGM_RSRC2:USER_SGPR: 2
; COMPUTE_PGM_RSRC2:TRAP_HANDLER: 0
; COMPUTE_PGM_RSRC2:TGID_X_EN: 1
; COMPUTE_PGM_RSRC2:TGID_Y_EN: 0
; COMPUTE_PGM_RSRC2:TGID_Z_EN: 0
; COMPUTE_PGM_RSRC2:TIDIG_COMP_CNT: 0
	.text
	.protected	_Z18interpolate_devicePVfPKfS2_S2_ii ; -- Begin function _Z18interpolate_devicePVfPKfS2_S2_ii
	.globl	_Z18interpolate_devicePVfPKfS2_S2_ii
	.p2align	8
	.type	_Z18interpolate_devicePVfPKfS2_S2_ii,@function
_Z18interpolate_devicePVfPKfS2_S2_ii:   ; @_Z18interpolate_devicePVfPKfS2_S2_ii
; %bb.0:
	s_clause 0x1
	s_load_b32 s4, s[0:1], 0x34
	s_load_b64 s[2:3], s[0:1], 0x20
	s_bfe_u32 s5, ttmp6, 0x4000c
	s_and_b32 s6, ttmp6, 15
	s_add_co_i32 s5, s5, 1
	s_getreg_b32 s7, hwreg(HW_REG_IB_STS2, 6, 4)
	s_mul_i32 s5, ttmp9, s5
	s_delay_alu instid0(SALU_CYCLE_1) | instskip(SKIP_4) | instid1(SALU_CYCLE_1)
	s_add_co_i32 s6, s6, s5
	s_wait_kmcnt 0x0
	s_and_b32 s4, s4, 0xffff
	s_cmp_eq_u32 s7, 0
	s_cselect_b32 s5, ttmp9, s6
	v_mad_u32 v0, s5, s4, v0
	s_mul_i32 s4, s3, s2
	s_delay_alu instid0(VALU_DEP_1) | instid1(SALU_CYCLE_1)
	v_cmp_gt_i32_e32 vcc_lo, s4, v0
	s_and_saveexec_b32 s4, vcc_lo
	s_cbranch_execz .LBB3_8
; %bb.1:
	s_abs_i32 s12, s3
	v_xor_b32_e32 v4, s3, v0
	s_cvt_f32_u32 s4, s12
	s_sub_co_i32 s5, 0, s12
	s_delay_alu instid0(SALU_CYCLE_2) | instskip(SKIP_1) | instid1(TRANS32_DEP_1)
	v_rcp_iflag_f32_e32 v1, s4
	v_nop
	v_readfirstlane_b32 s4, v1
	v_sub_nc_u32_e32 v1, 0, v0
	s_mul_f32 s4, s4, 0x4f7ffffe
	s_delay_alu instid0(VALU_DEP_1) | instskip(NEXT) | instid1(SALU_CYCLE_2)
	v_max_i32_e32 v1, v0, v1
	s_cvt_u32_f32 s4, s4
	s_delay_alu instid0(SALU_CYCLE_3) | instskip(NEXT) | instid1(SALU_CYCLE_1)
	s_mul_i32 s5, s5, s4
	s_mul_hi_u32 s5, s4, s5
	s_delay_alu instid0(SALU_CYCLE_1)
	s_add_co_i32 s4, s4, s5
	s_cmp_lt_i32 s2, 1
	v_mul_hi_u32 v2, v1, s4
	s_clause 0x2
	s_load_b64 s[8:9], s[0:1], 0x0
	s_load_b128 s[4:7], s[0:1], 0x8
	s_load_b64 s[10:11], s[0:1], 0x18
	s_delay_alu instid0(VALU_DEP_1) | instskip(NEXT) | instid1(VALU_DEP_1)
	v_mul_lo_u32 v3, v2, s12
	v_dual_sub_nc_u32 v1, v1, v3 :: v_dual_add_nc_u32 v3, 1, v2
	s_delay_alu instid0(VALU_DEP_1) | instskip(NEXT) | instid1(VALU_DEP_2)
	v_cmp_le_u32_e32 vcc_lo, s12, v1
	v_cndmask_b32_e32 v2, v2, v3, vcc_lo
	v_subrev_nc_u32_e32 v3, s12, v1
	s_delay_alu instid0(VALU_DEP_1) | instskip(NEXT) | instid1(VALU_DEP_1)
	v_dual_cndmask_b32 v1, v1, v3, vcc_lo :: v_dual_add_nc_u32 v3, 1, v2
	v_cmp_le_u32_e32 vcc_lo, s12, v1
	s_delay_alu instid0(VALU_DEP_2) | instskip(NEXT) | instid1(VALU_DEP_1)
	v_dual_cndmask_b32 v1, v2, v3 :: v_dual_ashrrev_i32 v4, 31, v4
	v_xor_b32_e32 v1, v1, v4
	s_delay_alu instid0(VALU_DEP_1)
	v_sub_nc_u32_e32 v2, v1, v4
	s_cbranch_scc1 .LBB3_6
; %bb.2:
	s_delay_alu instid0(VALU_DEP_1) | instskip(NEXT) | instid1(VALU_DEP_1)
	v_mul_lo_u32 v1, v2, s3
	v_dual_mov_b32 v4, v2 :: v_dual_sub_nc_u32 v1, v0, v1
	s_wait_kmcnt 0x0
	global_load_b32 v3, v1, s[4:5] scale_offset
	s_wait_xcnt 0x0
	v_mov_b32_e32 v1, 1.0
	s_branch .LBB3_4
.LBB3_3:                                ;   in Loop: Header=BB3_4 Depth=1
	s_or_b32 exec_lo, exec_lo, s0
	s_add_co_i32 s2, s2, -1
	s_add_nc_u64 s[6:7], s[6:7], 4
	s_cmp_lg_u32 s2, 0
	s_cbranch_scc0 .LBB3_7
.LBB3_4:                                ; =>This Inner Loop Header: Depth=1
	v_sub_co_u32 v4, s0, v4, 1
	s_xor_b32 s1, s0, -1
	s_delay_alu instid0(SALU_CYCLE_1)
	s_and_saveexec_b32 s0, s1
	s_cbranch_execz .LBB3_3
; %bb.5:                                ;   in Loop: Header=BB3_4 Depth=1
	s_load_b32 s1, s[6:7], 0x0
	s_wait_loadcnt 0x0
	s_wait_kmcnt 0x0
	v_subrev_f32_e32 v5, s1, v3
	s_delay_alu instid0(VALU_DEP_1)
	v_mul_f32_e32 v1, v1, v5
	s_branch .LBB3_3
.LBB3_6:
	v_mov_b32_e32 v1, 1.0
.LBB3_7:
	s_wait_kmcnt 0x0
	global_load_b32 v2, v2, s[10:11] scale_offset
	s_wait_loadcnt 0x0
	v_div_scale_f32 v3, null, v2, v2, v1
	s_delay_alu instid0(VALU_DEP_1) | instskip(SKIP_1) | instid1(TRANS32_DEP_1)
	v_rcp_f32_e32 v4, v3
	v_nop
	v_fma_f32 v5, -v3, v4, 1.0
	s_delay_alu instid0(VALU_DEP_1) | instskip(SKIP_1) | instid1(VALU_DEP_1)
	v_fmac_f32_e32 v4, v5, v4
	v_div_scale_f32 v5, vcc_lo, v1, v2, v1
	v_mul_f32_e32 v6, v5, v4
	s_delay_alu instid0(VALU_DEP_1) | instskip(NEXT) | instid1(VALU_DEP_1)
	v_fma_f32 v7, -v3, v6, v5
	v_fmac_f32_e32 v6, v7, v4
	s_delay_alu instid0(VALU_DEP_1) | instskip(NEXT) | instid1(VALU_DEP_1)
	v_fma_f32 v3, -v3, v6, v5
	v_div_fmas_f32 v3, v3, v4, v6
	s_delay_alu instid0(VALU_DEP_1)
	v_div_fixup_f32 v1, v3, v2, v1
	flat_store_b32 v0, v1, s[8:9] scale_offset scope:SCOPE_SYS
	s_wait_storecnt 0x0
.LBB3_8:
	s_endpgm
	.section	.rodata,"a",@progbits
	.p2align	6, 0x0
	.amdhsa_kernel _Z18interpolate_devicePVfPKfS2_S2_ii
		.amdhsa_group_segment_fixed_size 0
		.amdhsa_private_segment_fixed_size 0
		.amdhsa_kernarg_size 296
		.amdhsa_user_sgpr_count 2
		.amdhsa_user_sgpr_dispatch_ptr 0
		.amdhsa_user_sgpr_queue_ptr 0
		.amdhsa_user_sgpr_kernarg_segment_ptr 1
		.amdhsa_user_sgpr_dispatch_id 0
		.amdhsa_user_sgpr_kernarg_preload_length 0
		.amdhsa_user_sgpr_kernarg_preload_offset 0
		.amdhsa_user_sgpr_private_segment_size 0
		.amdhsa_wavefront_size32 1
		.amdhsa_uses_dynamic_stack 0
		.amdhsa_enable_private_segment 0
		.amdhsa_system_sgpr_workgroup_id_x 1
		.amdhsa_system_sgpr_workgroup_id_y 0
		.amdhsa_system_sgpr_workgroup_id_z 0
		.amdhsa_system_sgpr_workgroup_info 0
		.amdhsa_system_vgpr_workitem_id 0
		.amdhsa_next_free_vgpr 8
		.amdhsa_next_free_sgpr 13
		.amdhsa_named_barrier_count 0
		.amdhsa_reserve_vcc 1
		.amdhsa_float_round_mode_32 0
		.amdhsa_float_round_mode_16_64 0
		.amdhsa_float_denorm_mode_32 3
		.amdhsa_float_denorm_mode_16_64 3
		.amdhsa_fp16_overflow 0
		.amdhsa_memory_ordered 1
		.amdhsa_forward_progress 1
		.amdhsa_inst_pref_size 5
		.amdhsa_round_robin_scheduling 0
		.amdhsa_exception_fp_ieee_invalid_op 0
		.amdhsa_exception_fp_denorm_src 0
		.amdhsa_exception_fp_ieee_div_zero 0
		.amdhsa_exception_fp_ieee_overflow 0
		.amdhsa_exception_fp_ieee_underflow 0
		.amdhsa_exception_fp_ieee_inexact 0
		.amdhsa_exception_int_div_zero 0
	.end_amdhsa_kernel
	.text
.Lfunc_end3:
	.size	_Z18interpolate_devicePVfPKfS2_S2_ii, .Lfunc_end3-_Z18interpolate_devicePVfPKfS2_S2_ii
                                        ; -- End function
	.set _Z18interpolate_devicePVfPKfS2_S2_ii.num_vgpr, 8
	.set _Z18interpolate_devicePVfPKfS2_S2_ii.num_agpr, 0
	.set _Z18interpolate_devicePVfPKfS2_S2_ii.numbered_sgpr, 13
	.set _Z18interpolate_devicePVfPKfS2_S2_ii.num_named_barrier, 0
	.set _Z18interpolate_devicePVfPKfS2_S2_ii.private_seg_size, 0
	.set _Z18interpolate_devicePVfPKfS2_S2_ii.uses_vcc, 1
	.set _Z18interpolate_devicePVfPKfS2_S2_ii.uses_flat_scratch, 0
	.set _Z18interpolate_devicePVfPKfS2_S2_ii.has_dyn_sized_stack, 0
	.set _Z18interpolate_devicePVfPKfS2_S2_ii.has_recursion, 0
	.set _Z18interpolate_devicePVfPKfS2_S2_ii.has_indirect_call, 0
	.section	.AMDGPU.csdata,"",@progbits
; Kernel info:
; codeLenInByte = 568
; TotalNumSgprs: 15
; NumVgprs: 8
; ScratchSize: 0
; MemoryBound: 0
; FloatMode: 240
; IeeeMode: 1
; LDSByteSize: 0 bytes/workgroup (compile time only)
; SGPRBlocks: 0
; VGPRBlocks: 0
; NumSGPRsForWavesPerEU: 15
; NumVGPRsForWavesPerEU: 8
; NamedBarCnt: 0
; Occupancy: 16
; WaveLimiterHint : 0
; COMPUTE_PGM_RSRC2:SCRATCH_EN: 0
; COMPUTE_PGM_RSRC2:USER_SGPR: 2
; COMPUTE_PGM_RSRC2:TRAP_HANDLER: 0
; COMPUTE_PGM_RSRC2:TGID_X_EN: 1
; COMPUTE_PGM_RSRC2:TGID_Y_EN: 0
; COMPUTE_PGM_RSRC2:TGID_Z_EN: 0
; COMPUTE_PGM_RSRC2:TIDIG_COMP_CNT: 0
	.text
	.protected	_Z28compute_interpolated_indicesPfPKiPKfS3_S3_iiii ; -- Begin function _Z28compute_interpolated_indicesPfPKiPKfS3_S3_iiii
	.globl	_Z28compute_interpolated_indicesPfPKiPKfS3_S3_iiii
	.p2align	8
	.type	_Z28compute_interpolated_indicesPfPKiPKfS3_S3_iiii,@function
_Z28compute_interpolated_indicesPfPKiPKfS3_S3_iiii: ; @_Z28compute_interpolated_indicesPfPKiPKfS3_S3_iiii
; %bb.0:
	s_clause 0x1
	s_load_b32 s2, s[0:1], 0x44
	s_load_b128 s[12:15], s[0:1], 0x28
	s_bfe_u32 s3, ttmp6, 0x4000c
	s_and_b32 s4, ttmp6, 15
	s_add_co_i32 s3, s3, 1
	s_getreg_b32 s5, hwreg(HW_REG_IB_STS2, 6, 4)
	s_mul_i32 s3, ttmp9, s3
	s_delay_alu instid0(SALU_CYCLE_1) | instskip(SKIP_4) | instid1(SALU_CYCLE_1)
	s_add_co_i32 s4, s4, s3
	s_wait_kmcnt 0x0
	s_and_b32 s2, s2, 0xffff
	s_cmp_eq_u32 s5, 0
	s_cselect_b32 s3, ttmp9, s4
	v_mad_u32 v0, s3, s2, v0
	s_mul_i32 s2, s13, s12
	s_delay_alu instid0(SALU_CYCLE_1) | instskip(NEXT) | instid1(SALU_CYCLE_1)
	s_mul_i32 s2, s2, s13
	s_mul_i32 s2, s2, s15
	s_delay_alu instid0(VALU_DEP_1) | instid1(SALU_CYCLE_1)
	v_cmp_gt_i32_e32 vcc_lo, s2, v0
	s_and_saveexec_b32 s2, vcc_lo
	s_cbranch_execz .LBB4_2
; %bb.1:
	s_abs_i32 s2, s15
	s_delay_alu instid0(SALU_CYCLE_1) | instskip(SKIP_1) | instid1(SALU_CYCLE_2)
	s_cvt_f32_u32 s3, s2
	s_sub_co_i32 s4, 0, s2
	v_rcp_iflag_f32_e32 v1, s3
	v_nop
	s_delay_alu instid0(TRANS32_DEP_1) | instskip(SKIP_2) | instid1(VALU_DEP_1)
	v_readfirstlane_b32 s3, v1
	v_sub_nc_u32_e32 v1, 0, v0
	s_mul_f32 s3, s3, 0x4f7ffffe
	v_max_i32_e32 v1, v0, v1
	s_delay_alu instid0(SALU_CYCLE_2) | instskip(NEXT) | instid1(SALU_CYCLE_3)
	s_cvt_u32_f32 s3, s3
	s_mul_i32 s4, s4, s3
	s_delay_alu instid0(SALU_CYCLE_1) | instskip(NEXT) | instid1(SALU_CYCLE_1)
	s_mul_hi_u32 s4, s3, s4
	s_add_co_i32 s3, s3, s4
	s_delay_alu instid0(SALU_CYCLE_1) | instskip(SKIP_1) | instid1(SALU_CYCLE_1)
	v_mul_hi_u32 v2, v1, s3
	s_abs_i32 s3, s12
	s_cvt_f32_u32 s4, s3
	s_delay_alu instid0(SALU_CYCLE_3) | instskip(SKIP_1) | instid1(VALU_DEP_1)
	v_rcp_iflag_f32_e32 v5, s4
	s_sub_co_i32 s4, 0, s3
	v_mul_lo_u32 v3, v2, s2
	s_delay_alu instid0(VALU_DEP_1) | instskip(NEXT) | instid1(VALU_DEP_1)
	v_dual_sub_nc_u32 v1, v1, v3 :: v_dual_add_nc_u32 v3, 1, v2
	v_cmp_le_u32_e32 vcc_lo, s2, v1
	s_delay_alu instid0(VALU_DEP_2) | instskip(SKIP_1) | instid1(VALU_DEP_1)
	v_dual_cndmask_b32 v2, v2, v3, vcc_lo :: v_dual_bitop2_b32 v3, s15, v0 bitop3:0x14
	v_subrev_nc_u32_e32 v4, s2, v1
	v_dual_cndmask_b32 v1, v1, v4 :: v_dual_add_nc_u32 v4, 1, v2
	s_delay_alu instid0(VALU_DEP_1) | instskip(NEXT) | instid1(VALU_DEP_4)
	v_cmp_le_u32_e32 vcc_lo, s2, v1
	v_ashrrev_i32_e32 v3, 31, v3
	v_readfirstlane_b32 s2, v5
	s_delay_alu instid0(VALU_DEP_4) | instskip(SKIP_1) | instid1(VALU_DEP_1)
	v_cndmask_b32_e32 v1, v2, v4, vcc_lo
	s_mul_f32 s2, s2, 0x4f7ffffe
	v_xor_b32_e32 v1, v1, v3
	s_delay_alu instid0(SALU_CYCLE_2) | instskip(NEXT) | instid1(SALU_CYCLE_3)
	s_cvt_u32_f32 s2, s2
	s_mul_i32 s4, s4, s2
	s_delay_alu instid0(VALU_DEP_1) | instskip(SKIP_1) | instid1(SALU_CYCLE_1)
	v_sub_nc_u32_e32 v1, v1, v3
	s_mul_hi_u32 s4, s2, s4
	s_add_co_i32 s2, s2, s4
	s_load_b256 s[4:11], s[0:1], 0x8
	s_delay_alu instid0(VALU_DEP_1) | instskip(SKIP_2) | instid1(VALU_DEP_1)
	v_sub_nc_u32_e32 v2, 0, v1
	s_wait_xcnt 0x0
	s_load_b64 s[0:1], s[0:1], 0x0
	v_max_i32_e32 v2, v1, v2
	s_delay_alu instid0(VALU_DEP_1) | instskip(SKIP_1) | instid1(VALU_DEP_1)
	v_mul_hi_u32 v3, v2, s2
	s_abs_i32 s2, s13
	v_mul_lo_u32 v4, v3, s3
	s_delay_alu instid0(VALU_DEP_1) | instskip(NEXT) | instid1(VALU_DEP_1)
	v_dual_sub_nc_u32 v2, v2, v4 :: v_dual_add_nc_u32 v4, 1, v3
	v_subrev_nc_u32_e32 v5, s3, v2
	v_cmp_le_u32_e32 vcc_lo, s3, v2
	s_delay_alu instid0(VALU_DEP_3) | instskip(NEXT) | instid1(VALU_DEP_1)
	v_dual_cndmask_b32 v3, v3, v4, vcc_lo :: v_dual_bitop2_b32 v4, s12, v1 bitop3:0x14
	v_dual_cndmask_b32 v2, v2, v5 :: v_dual_add_nc_u32 v5, 1, v3
	s_delay_alu instid0(VALU_DEP_2) | instskip(NEXT) | instid1(VALU_DEP_2)
	v_ashrrev_i32_e32 v4, 31, v4
	v_cmp_le_u32_e32 vcc_lo, s3, v2
	s_cvt_f32_u32 s3, s2
	s_delay_alu instid0(VALU_DEP_3) | instskip(NEXT) | instid1(SALU_CYCLE_2)
	v_cndmask_b32_e32 v2, v3, v5, vcc_lo
	v_rcp_iflag_f32_e32 v5, s3
	s_delay_alu instid0(VALU_DEP_1) | instskip(NEXT) | instid1(TRANS32_DEP_1)
	v_xor_b32_e32 v2, v2, v4
	v_readfirstlane_b32 s3, v5
	s_delay_alu instid0(VALU_DEP_2) | instskip(SKIP_1) | instid1(VALU_DEP_1)
	v_sub_nc_u32_e32 v2, v2, v4
	s_mul_f32 s3, s3, 0x4f7ffffe
	v_mul_lo_u32 v3, v2, s12
	v_sub_nc_u32_e32 v5, 0, v2
	s_delay_alu instid0(SALU_CYCLE_1) | instskip(NEXT) | instid1(VALU_DEP_1)
	s_cvt_u32_f32 s3, s3
	v_dual_sub_nc_u32 v3, v1, v3 :: v_dual_max_i32 v5, v2, v5
	v_mul_lo_u32 v1, v1, s15
	s_wait_kmcnt 0x0
	global_load_b32 v4, v3, s[4:5] scale_offset
	s_wait_xcnt 0x0
	s_sub_co_i32 s4, 0, s2
	s_delay_alu instid0(SALU_CYCLE_1) | instskip(NEXT) | instid1(SALU_CYCLE_1)
	s_mul_i32 s4, s4, s3
	s_mul_hi_u32 s4, s3, s4
	s_delay_alu instid0(SALU_CYCLE_1) | instskip(SKIP_2) | instid1(VALU_DEP_1)
	s_add_co_i32 s3, s3, s4
	v_sub_nc_u32_e32 v0, v0, v1
	v_mul_hi_u32 v6, v5, s3
	v_mul_lo_u32 v7, v6, s2
	s_delay_alu instid0(VALU_DEP_1) | instskip(NEXT) | instid1(VALU_DEP_1)
	v_dual_sub_nc_u32 v5, v5, v7 :: v_dual_add_nc_u32 v7, 1, v6
	v_subrev_nc_u32_e32 v8, s2, v5
	v_cmp_le_u32_e32 vcc_lo, s2, v5
	s_delay_alu instid0(VALU_DEP_2) | instskip(NEXT) | instid1(VALU_DEP_1)
	v_dual_cndmask_b32 v6, v6, v7 :: v_dual_cndmask_b32 v5, v5, v8
	v_add_nc_u32_e32 v8, 1, v6
	s_delay_alu instid0(VALU_DEP_2) | instskip(SKIP_2) | instid1(SALU_CYCLE_1)
	v_cmp_le_u32_e32 vcc_lo, s2, v5
	v_xor_b32_e32 v7, s13, v2
	s_abs_i32 s2, s14
	s_cvt_f32_u32 s3, s2
	s_delay_alu instid0(VALU_DEP_1) | instskip(SKIP_1) | instid1(VALU_DEP_1)
	v_dual_cndmask_b32 v5, v6, v8, vcc_lo :: v_dual_ashrrev_i32 v7, 31, v7
	s_sub_co_i32 s4, 0, s2
	v_xor_b32_e32 v5, v5, v7
	s_delay_alu instid0(VALU_DEP_1) | instskip(NEXT) | instid1(VALU_DEP_1)
	v_sub_nc_u32_e32 v5, v5, v7
	v_mul_lo_u32 v6, v5, s13
	v_mad_u32 v1, v5, s12, v3
	s_delay_alu instid0(VALU_DEP_2) | instskip(NEXT) | instid1(VALU_DEP_1)
	v_sub_nc_u32_e32 v2, v2, v6
	v_mad_u32 v6, v2, s12, v3
	v_mad_u32 v3, v3, s15, v0
	global_load_b32 v7, v1, s[8:9] scale_offset
	global_load_b32 v8, v6, s[10:11] scale_offset
	;; [unrolled: 1-line block ×3, first 2 shown]
	s_wait_xcnt 0x2
	v_rcp_iflag_f32_e32 v1, s3
	v_nop
	s_delay_alu instid0(TRANS32_DEP_1) | instskip(SKIP_1) | instid1(SALU_CYCLE_3)
	v_readfirstlane_b32 s3, v1
	s_mul_f32 s3, s3, 0x4f7ffffe
	s_cvt_u32_f32 s3, s3
	s_delay_alu instid0(SALU_CYCLE_3) | instskip(NEXT) | instid1(SALU_CYCLE_1)
	s_mul_i32 s4, s4, s3
	s_mul_hi_u32 s4, s3, s4
	s_delay_alu instid0(SALU_CYCLE_1) | instskip(SKIP_2) | instid1(VALU_DEP_1)
	s_add_co_i32 s3, s3, s4
	s_wait_loadcnt 0x3
	v_sub_nc_u32_e32 v1, 0, v4
	v_max_i32_e32 v1, v4, v1
	s_wait_xcnt 0x0
	s_delay_alu instid0(VALU_DEP_1) | instskip(NEXT) | instid1(VALU_DEP_1)
	v_mul_hi_u32 v3, v1, s3
	v_mul_lo_u32 v6, v3, s2
	s_delay_alu instid0(VALU_DEP_1) | instskip(NEXT) | instid1(VALU_DEP_1)
	v_dual_sub_nc_u32 v1, v1, v6 :: v_dual_add_nc_u32 v6, 1, v3
	v_cmp_le_u32_e32 vcc_lo, s2, v1
	s_delay_alu instid0(VALU_DEP_2) | instskip(SKIP_1) | instid1(VALU_DEP_1)
	v_cndmask_b32_e32 v3, v3, v6, vcc_lo
	v_subrev_nc_u32_e32 v10, s2, v1
	v_dual_cndmask_b32 v1, v1, v10, vcc_lo :: v_dual_bitop2_b32 v6, s14, v4 bitop3:0x14
	s_delay_alu instid0(VALU_DEP_1) | instskip(NEXT) | instid1(VALU_DEP_2)
	v_dual_add_nc_u32 v10, 1, v3 :: v_dual_ashrrev_i32 v6, 31, v6
	v_cmp_le_u32_e32 vcc_lo, s2, v1
	s_delay_alu instid0(VALU_DEP_2) | instskip(NEXT) | instid1(VALU_DEP_1)
	v_cndmask_b32_e32 v1, v3, v10, vcc_lo
	v_xor_b32_e32 v1, v1, v6
	s_delay_alu instid0(VALU_DEP_1) | instskip(NEXT) | instid1(VALU_DEP_1)
	v_sub_nc_u32_e32 v1, v1, v6
	v_mul_lo_u32 v3, v1, s14
	s_delay_alu instid0(VALU_DEP_1) | instskip(NEXT) | instid1(VALU_DEP_1)
	v_sub_nc_u32_e32 v3, v4, v3
	v_mad_u32 v3, v3, s13, v5
	s_wait_loadcnt 0x1
	v_mul_f32_e32 v4, v7, v8
	s_delay_alu instid0(VALU_DEP_2) | instskip(NEXT) | instid1(VALU_DEP_1)
	v_mad_u32 v1, v3, s14, v1
	v_mad_u32 v1, v1, s13, v2
	s_delay_alu instid0(VALU_DEP_1) | instskip(NEXT) | instid1(VALU_DEP_1)
	v_mul_lo_u32 v2, v1, s15
	v_dual_ashrrev_i32 v1, 31, v0 :: v_dual_ashrrev_i32 v3, 31, v2
	s_delay_alu instid0(VALU_DEP_1) | instskip(NEXT) | instid1(VALU_DEP_1)
	v_lshl_add_u64 v[2:3], v[2:3], 2, s[0:1]
	v_lshl_add_u64 v[0:1], v[0:1], 2, v[2:3]
	s_wait_loadcnt 0x0
	v_mul_f32_e32 v2, v4, v9
	global_atomic_add_f32 v[0:1], v2, off scope:SCOPE_DEV
.LBB4_2:
	s_endpgm
	.section	.rodata,"a",@progbits
	.p2align	6, 0x0
	.amdhsa_kernel _Z28compute_interpolated_indicesPfPKiPKfS3_S3_iiii
		.amdhsa_group_segment_fixed_size 0
		.amdhsa_private_segment_fixed_size 0
		.amdhsa_kernarg_size 312
		.amdhsa_user_sgpr_count 2
		.amdhsa_user_sgpr_dispatch_ptr 0
		.amdhsa_user_sgpr_queue_ptr 0
		.amdhsa_user_sgpr_kernarg_segment_ptr 1
		.amdhsa_user_sgpr_dispatch_id 0
		.amdhsa_user_sgpr_kernarg_preload_length 0
		.amdhsa_user_sgpr_kernarg_preload_offset 0
		.amdhsa_user_sgpr_private_segment_size 0
		.amdhsa_wavefront_size32 1
		.amdhsa_uses_dynamic_stack 0
		.amdhsa_enable_private_segment 0
		.amdhsa_system_sgpr_workgroup_id_x 1
		.amdhsa_system_sgpr_workgroup_id_y 0
		.amdhsa_system_sgpr_workgroup_id_z 0
		.amdhsa_system_sgpr_workgroup_info 0
		.amdhsa_system_vgpr_workitem_id 0
		.amdhsa_next_free_vgpr 11
		.amdhsa_next_free_sgpr 16
		.amdhsa_named_barrier_count 0
		.amdhsa_reserve_vcc 1
		.amdhsa_float_round_mode_32 0
		.amdhsa_float_round_mode_16_64 0
		.amdhsa_float_denorm_mode_32 3
		.amdhsa_float_denorm_mode_16_64 3
		.amdhsa_fp16_overflow 0
		.amdhsa_memory_ordered 1
		.amdhsa_forward_progress 1
		.amdhsa_inst_pref_size 9
		.amdhsa_round_robin_scheduling 0
		.amdhsa_exception_fp_ieee_invalid_op 0
		.amdhsa_exception_fp_denorm_src 0
		.amdhsa_exception_fp_ieee_div_zero 0
		.amdhsa_exception_fp_ieee_overflow 0
		.amdhsa_exception_fp_ieee_underflow 0
		.amdhsa_exception_fp_ieee_inexact 0
		.amdhsa_exception_int_div_zero 0
	.end_amdhsa_kernel
	.text
.Lfunc_end4:
	.size	_Z28compute_interpolated_indicesPfPKiPKfS3_S3_iiii, .Lfunc_end4-_Z28compute_interpolated_indicesPfPKiPKfS3_S3_iiii
                                        ; -- End function
	.set _Z28compute_interpolated_indicesPfPKiPKfS3_S3_iiii.num_vgpr, 11
	.set _Z28compute_interpolated_indicesPfPKiPKfS3_S3_iiii.num_agpr, 0
	.set _Z28compute_interpolated_indicesPfPKiPKfS3_S3_iiii.numbered_sgpr, 16
	.set _Z28compute_interpolated_indicesPfPKiPKfS3_S3_iiii.num_named_barrier, 0
	.set _Z28compute_interpolated_indicesPfPKiPKfS3_S3_iiii.private_seg_size, 0
	.set _Z28compute_interpolated_indicesPfPKiPKfS3_S3_iiii.uses_vcc, 1
	.set _Z28compute_interpolated_indicesPfPKiPKfS3_S3_iiii.uses_flat_scratch, 0
	.set _Z28compute_interpolated_indicesPfPKiPKfS3_S3_iiii.has_dyn_sized_stack, 0
	.set _Z28compute_interpolated_indicesPfPKiPKfS3_S3_iiii.has_recursion, 0
	.set _Z28compute_interpolated_indicesPfPKiPKfS3_S3_iiii.has_indirect_call, 0
	.section	.AMDGPU.csdata,"",@progbits
; Kernel info:
; codeLenInByte = 1060
; TotalNumSgprs: 18
; NumVgprs: 11
; ScratchSize: 0
; MemoryBound: 0
; FloatMode: 240
; IeeeMode: 1
; LDSByteSize: 0 bytes/workgroup (compile time only)
; SGPRBlocks: 0
; VGPRBlocks: 0
; NumSGPRsForWavesPerEU: 18
; NumVGPRsForWavesPerEU: 11
; NamedBarCnt: 0
; Occupancy: 16
; WaveLimiterHint : 1
; COMPUTE_PGM_RSRC2:SCRATCH_EN: 0
; COMPUTE_PGM_RSRC2:USER_SGPR: 2
; COMPUTE_PGM_RSRC2:TRAP_HANDLER: 0
; COMPUTE_PGM_RSRC2:TGID_X_EN: 1
; COMPUTE_PGM_RSRC2:TGID_Y_EN: 0
; COMPUTE_PGM_RSRC2:TGID_Z_EN: 0
; COMPUTE_PGM_RSRC2:TIDIG_COMP_CNT: 0
	.text
	.protected	_Z25compute_potential_indicesPfPKiPKfS3_S3_iiii ; -- Begin function _Z25compute_potential_indicesPfPKiPKfS3_S3_iiii
	.globl	_Z25compute_potential_indicesPfPKiPKfS3_S3_iiii
	.p2align	8
	.type	_Z25compute_potential_indicesPfPKiPKfS3_S3_iiii,@function
_Z25compute_potential_indicesPfPKiPKfS3_S3_iiii: ; @_Z25compute_potential_indicesPfPKiPKfS3_S3_iiii
; %bb.0:
	s_clause 0x1
	s_load_b32 s2, s[0:1], 0x44
	s_load_b128 s[12:15], s[0:1], 0x28
	s_bfe_u32 s3, ttmp6, 0x4000c
	s_and_b32 s4, ttmp6, 15
	s_add_co_i32 s3, s3, 1
	s_getreg_b32 s5, hwreg(HW_REG_IB_STS2, 6, 4)
	s_mul_i32 s3, ttmp9, s3
	s_delay_alu instid0(SALU_CYCLE_1) | instskip(SKIP_4) | instid1(SALU_CYCLE_1)
	s_add_co_i32 s4, s4, s3
	s_wait_kmcnt 0x0
	s_and_b32 s2, s2, 0xffff
	s_cmp_eq_u32 s5, 0
	s_cselect_b32 s3, ttmp9, s4
	v_mad_u32 v0, s3, s2, v0
	s_mul_i32 s2, s13, s12
	s_delay_alu instid0(SALU_CYCLE_1) | instskip(NEXT) | instid1(SALU_CYCLE_1)
	s_mul_i32 s2, s2, s13
	s_mul_i32 s2, s2, s15
	s_delay_alu instid0(VALU_DEP_1) | instid1(SALU_CYCLE_1)
	v_cmp_gt_i32_e32 vcc_lo, s2, v0
	s_and_saveexec_b32 s2, vcc_lo
	s_cbranch_execz .LBB5_2
; %bb.1:
	s_abs_i32 s2, s15
	s_delay_alu instid0(SALU_CYCLE_1) | instskip(SKIP_1) | instid1(SALU_CYCLE_2)
	s_cvt_f32_u32 s3, s2
	s_sub_co_i32 s4, 0, s2
	v_rcp_iflag_f32_e32 v1, s3
	v_nop
	s_delay_alu instid0(TRANS32_DEP_1) | instskip(SKIP_2) | instid1(VALU_DEP_1)
	v_readfirstlane_b32 s3, v1
	v_sub_nc_u32_e32 v1, 0, v0
	s_mul_f32 s3, s3, 0x4f7ffffe
	v_max_i32_e32 v1, v0, v1
	s_delay_alu instid0(SALU_CYCLE_2) | instskip(NEXT) | instid1(SALU_CYCLE_3)
	s_cvt_u32_f32 s3, s3
	s_mul_i32 s4, s4, s3
	s_delay_alu instid0(SALU_CYCLE_1) | instskip(NEXT) | instid1(SALU_CYCLE_1)
	s_mul_hi_u32 s4, s3, s4
	s_add_co_i32 s3, s3, s4
	s_delay_alu instid0(SALU_CYCLE_1) | instskip(SKIP_1) | instid1(SALU_CYCLE_1)
	v_mul_hi_u32 v2, v1, s3
	s_abs_i32 s3, s12
	s_cvt_f32_u32 s4, s3
	s_delay_alu instid0(SALU_CYCLE_3) | instskip(SKIP_1) | instid1(VALU_DEP_1)
	v_rcp_iflag_f32_e32 v5, s4
	s_sub_co_i32 s4, 0, s3
	v_mul_lo_u32 v3, v2, s2
	s_delay_alu instid0(VALU_DEP_1) | instskip(NEXT) | instid1(VALU_DEP_1)
	v_dual_sub_nc_u32 v1, v1, v3 :: v_dual_add_nc_u32 v3, 1, v2
	v_cmp_le_u32_e32 vcc_lo, s2, v1
	s_delay_alu instid0(VALU_DEP_2) | instskip(SKIP_1) | instid1(VALU_DEP_1)
	v_dual_cndmask_b32 v2, v2, v3, vcc_lo :: v_dual_bitop2_b32 v3, s15, v0 bitop3:0x14
	v_subrev_nc_u32_e32 v4, s2, v1
	v_dual_cndmask_b32 v1, v1, v4 :: v_dual_add_nc_u32 v4, 1, v2
	s_delay_alu instid0(VALU_DEP_1) | instskip(NEXT) | instid1(VALU_DEP_4)
	v_cmp_le_u32_e32 vcc_lo, s2, v1
	v_ashrrev_i32_e32 v3, 31, v3
	v_readfirstlane_b32 s2, v5
	s_delay_alu instid0(VALU_DEP_4) | instskip(SKIP_1) | instid1(VALU_DEP_1)
	v_cndmask_b32_e32 v1, v2, v4, vcc_lo
	s_mul_f32 s2, s2, 0x4f7ffffe
	v_xor_b32_e32 v1, v1, v3
	s_delay_alu instid0(SALU_CYCLE_2) | instskip(NEXT) | instid1(SALU_CYCLE_3)
	s_cvt_u32_f32 s2, s2
	s_mul_i32 s4, s4, s2
	s_delay_alu instid0(VALU_DEP_1) | instskip(SKIP_1) | instid1(SALU_CYCLE_1)
	v_sub_nc_u32_e32 v1, v1, v3
	s_mul_hi_u32 s4, s2, s4
	s_add_co_i32 s2, s2, s4
	s_load_b256 s[4:11], s[0:1], 0x8
	s_delay_alu instid0(VALU_DEP_1) | instskip(SKIP_2) | instid1(VALU_DEP_1)
	v_sub_nc_u32_e32 v2, 0, v1
	s_wait_xcnt 0x0
	s_load_b64 s[0:1], s[0:1], 0x0
	v_max_i32_e32 v2, v1, v2
	s_delay_alu instid0(VALU_DEP_1) | instskip(SKIP_1) | instid1(VALU_DEP_1)
	v_mul_hi_u32 v3, v2, s2
	s_abs_i32 s2, s14
	v_mul_lo_u32 v4, v3, s3
	s_delay_alu instid0(VALU_DEP_1) | instskip(NEXT) | instid1(VALU_DEP_1)
	v_dual_sub_nc_u32 v2, v2, v4 :: v_dual_add_nc_u32 v4, 1, v3
	v_subrev_nc_u32_e32 v5, s3, v2
	v_cmp_le_u32_e32 vcc_lo, s3, v2
	s_delay_alu instid0(VALU_DEP_3) | instskip(NEXT) | instid1(VALU_DEP_1)
	v_dual_cndmask_b32 v3, v3, v4, vcc_lo :: v_dual_bitop2_b32 v4, s12, v1 bitop3:0x14
	v_dual_cndmask_b32 v2, v2, v5 :: v_dual_add_nc_u32 v5, 1, v3
	s_delay_alu instid0(VALU_DEP_2) | instskip(NEXT) | instid1(VALU_DEP_2)
	v_ashrrev_i32_e32 v4, 31, v4
	v_cmp_le_u32_e32 vcc_lo, s3, v2
	s_cvt_f32_u32 s3, s2
	s_delay_alu instid0(VALU_DEP_3) | instskip(NEXT) | instid1(SALU_CYCLE_2)
	v_cndmask_b32_e32 v2, v3, v5, vcc_lo
	v_rcp_iflag_f32_e32 v5, s3
	s_abs_i32 s3, s13
	s_delay_alu instid0(VALU_DEP_1) | instskip(NEXT) | instid1(VALU_DEP_1)
	v_xor_b32_e32 v2, v2, v4
	v_sub_nc_u32_e32 v2, v2, v4
	s_delay_alu instid0(VALU_DEP_1) | instskip(NEXT) | instid1(VALU_DEP_1)
	v_mul_lo_u32 v3, v2, s12
	v_sub_nc_u32_e32 v3, v1, v3
	v_mul_lo_u32 v1, v1, s15
	s_wait_kmcnt 0x0
	global_load_b32 v4, v3, s[4:5] scale_offset
	s_wait_xcnt 0x0
	v_readfirstlane_b32 s4, v5
	s_cvt_f32_u32 s5, s3
	s_mul_f32 s4, s4, 0x4f7ffffe
	s_delay_alu instid0(SALU_CYCLE_2) | instskip(SKIP_3) | instid1(SALU_CYCLE_3)
	v_rcp_iflag_f32_e32 v5, s5
	s_sub_co_i32 s5, 0, s2
	v_sub_nc_u32_e32 v0, v0, v1
	s_cvt_u32_f32 s4, s4
	s_mul_i32 s5, s5, s4
	s_delay_alu instid0(TRANS32_DEP_1) | instskip(SKIP_1) | instid1(SALU_CYCLE_1)
	v_readfirstlane_b32 s16, v5
	s_mul_hi_u32 s5, s4, s5
	s_add_co_i32 s4, s4, s5
	s_mul_f32 s5, s16, 0x4f7ffffe
	s_wait_loadcnt 0x0
	v_sub_nc_u32_e32 v6, 0, v4
	s_delay_alu instid0(VALU_DEP_1) | instskip(NEXT) | instid1(VALU_DEP_1)
	v_max_i32_e32 v5, v4, v6
	v_mul_hi_u32 v6, v5, s4
	s_cvt_u32_f32 s4, s5
	s_sub_co_i32 s5, 0, s3
	s_delay_alu instid0(SALU_CYCLE_2) | instskip(NEXT) | instid1(SALU_CYCLE_1)
	s_mul_i32 s5, s5, s4
	s_mul_hi_u32 s5, s4, s5
	s_delay_alu instid0(SALU_CYCLE_1) | instskip(NEXT) | instid1(VALU_DEP_1)
	s_add_co_i32 s4, s4, s5
	v_mul_lo_u32 v8, v6, s2
	s_delay_alu instid0(VALU_DEP_1) | instskip(SKIP_1) | instid1(VALU_DEP_2)
	v_dual_sub_nc_u32 v7, 0, v2 :: v_dual_sub_nc_u32 v5, v5, v8
	v_add_nc_u32_e32 v8, 1, v6
	v_subrev_nc_u32_e32 v11, s2, v5
	v_cmp_le_u32_e32 vcc_lo, s2, v5
	s_delay_alu instid0(VALU_DEP_2) | instskip(NEXT) | instid1(VALU_DEP_1)
	v_dual_cndmask_b32 v6, v6, v8 :: v_dual_cndmask_b32 v5, v5, v11
	v_dual_add_nc_u32 v11, 1, v6 :: v_dual_max_i32 v7, v2, v7
	s_delay_alu instid0(VALU_DEP_2) | instskip(NEXT) | instid1(VALU_DEP_2)
	v_cmp_le_u32_e32 vcc_lo, s2, v5
	v_mul_hi_u32 v9, v7, s4
	s_delay_alu instid0(VALU_DEP_1) | instskip(SKIP_1) | instid1(VALU_DEP_2)
	v_dual_add_nc_u32 v12, 1, v9 :: v_dual_bitop2_b32 v8, s14, v4 bitop3:0x14
	v_mul_lo_u32 v10, v9, s3
	v_dual_cndmask_b32 v5, v6, v11 :: v_dual_ashrrev_i32 v8, 31, v8
	s_delay_alu instid0(VALU_DEP_2) | instskip(NEXT) | instid1(VALU_DEP_1)
	v_sub_nc_u32_e32 v7, v7, v10
	v_subrev_nc_u32_e32 v6, s3, v7
	v_cmp_le_u32_e32 vcc_lo, s3, v7
	v_cndmask_b32_e32 v9, v9, v12, vcc_lo
	s_delay_alu instid0(VALU_DEP_3) | instskip(NEXT) | instid1(VALU_DEP_2)
	v_dual_cndmask_b32 v6, v7, v6, vcc_lo :: v_dual_bitop2_b32 v5, v5, v8 bitop3:0x14
	v_dual_add_nc_u32 v7, 1, v9 :: v_dual_bitop2_b32 v10, s13, v2 bitop3:0x14
	s_delay_alu instid0(VALU_DEP_2) | instskip(NEXT) | instid1(VALU_DEP_3)
	v_sub_nc_u32_e32 v5, v5, v8
	v_cmp_le_u32_e32 vcc_lo, s3, v6
	s_delay_alu instid0(VALU_DEP_3) | instskip(NEXT) | instid1(VALU_DEP_3)
	v_dual_ashrrev_i32 v8, 31, v10 :: v_dual_cndmask_b32 v6, v9, v7, vcc_lo
	v_mul_lo_u32 v7, v5, s14
	s_delay_alu instid0(VALU_DEP_1) | instskip(NEXT) | instid1(VALU_DEP_1)
	v_dual_sub_nc_u32 v4, v4, v7 :: v_dual_bitop2_b32 v6, v6, v8 bitop3:0x14
	v_sub_nc_u32_e32 v6, v6, v8
	s_delay_alu instid0(VALU_DEP_1) | instskip(SKIP_2) | instid1(VALU_DEP_3)
	v_mad_u32 v4, v4, s13, v6
	v_mul_lo_u32 v7, v6, s13
	v_mad_u32 v1, v6, s12, v3
	v_mad_u32 v4, v4, s14, v5
	s_delay_alu instid0(VALU_DEP_3) | instskip(NEXT) | instid1(VALU_DEP_1)
	v_sub_nc_u32_e32 v2, v2, v7
	v_mad_u32 v4, v4, s13, v2
	v_mad_u32 v2, v2, s12, v3
	s_delay_alu instid0(VALU_DEP_2)
	v_mad_u32 v4, v4, s15, v0
	global_load_b32 v5, v1, s[8:9] scale_offset
	global_load_b32 v6, v2, s[10:11] scale_offset
	;; [unrolled: 1-line block ×3, first 2 shown]
	s_wait_xcnt 0x1
	v_mul_lo_u32 v2, v3, s15
	s_delay_alu instid0(VALU_DEP_1) | instskip(NEXT) | instid1(VALU_DEP_1)
	v_dual_ashrrev_i32 v1, 31, v0 :: v_dual_ashrrev_i32 v3, 31, v2
	v_lshl_add_u64 v[2:3], v[2:3], 2, s[0:1]
	s_delay_alu instid0(VALU_DEP_1) | instskip(SKIP_4) | instid1(VALU_DEP_1)
	v_lshl_add_u64 v[0:1], v[0:1], 2, v[2:3]
	s_wait_loadcnt 0x1
	s_wait_xcnt 0x0
	v_mul_f32_e32 v4, v5, v6
	s_wait_loadcnt 0x0
	v_mul_f32_e32 v2, v4, v7
	global_atomic_add_f32 v[0:1], v2, off scope:SCOPE_DEV
.LBB5_2:
	s_endpgm
	.section	.rodata,"a",@progbits
	.p2align	6, 0x0
	.amdhsa_kernel _Z25compute_potential_indicesPfPKiPKfS3_S3_iiii
		.amdhsa_group_segment_fixed_size 0
		.amdhsa_private_segment_fixed_size 0
		.amdhsa_kernarg_size 312
		.amdhsa_user_sgpr_count 2
		.amdhsa_user_sgpr_dispatch_ptr 0
		.amdhsa_user_sgpr_queue_ptr 0
		.amdhsa_user_sgpr_kernarg_segment_ptr 1
		.amdhsa_user_sgpr_dispatch_id 0
		.amdhsa_user_sgpr_kernarg_preload_length 0
		.amdhsa_user_sgpr_kernarg_preload_offset 0
		.amdhsa_user_sgpr_private_segment_size 0
		.amdhsa_wavefront_size32 1
		.amdhsa_uses_dynamic_stack 0
		.amdhsa_enable_private_segment 0
		.amdhsa_system_sgpr_workgroup_id_x 1
		.amdhsa_system_sgpr_workgroup_id_y 0
		.amdhsa_system_sgpr_workgroup_id_z 0
		.amdhsa_system_sgpr_workgroup_info 0
		.amdhsa_system_vgpr_workitem_id 0
		.amdhsa_next_free_vgpr 13
		.amdhsa_next_free_sgpr 17
		.amdhsa_named_barrier_count 0
		.amdhsa_reserve_vcc 1
		.amdhsa_float_round_mode_32 0
		.amdhsa_float_round_mode_16_64 0
		.amdhsa_float_denorm_mode_32 3
		.amdhsa_float_denorm_mode_16_64 3
		.amdhsa_fp16_overflow 0
		.amdhsa_memory_ordered 1
		.amdhsa_forward_progress 1
		.amdhsa_inst_pref_size 9
		.amdhsa_round_robin_scheduling 0
		.amdhsa_exception_fp_ieee_invalid_op 0
		.amdhsa_exception_fp_denorm_src 0
		.amdhsa_exception_fp_ieee_div_zero 0
		.amdhsa_exception_fp_ieee_overflow 0
		.amdhsa_exception_fp_ieee_underflow 0
		.amdhsa_exception_fp_ieee_inexact 0
		.amdhsa_exception_int_div_zero 0
	.end_amdhsa_kernel
	.text
.Lfunc_end5:
	.size	_Z25compute_potential_indicesPfPKiPKfS3_S3_iiii, .Lfunc_end5-_Z25compute_potential_indicesPfPKiPKfS3_S3_iiii
                                        ; -- End function
	.set _Z25compute_potential_indicesPfPKiPKfS3_S3_iiii.num_vgpr, 13
	.set _Z25compute_potential_indicesPfPKiPKfS3_S3_iiii.num_agpr, 0
	.set _Z25compute_potential_indicesPfPKiPKfS3_S3_iiii.numbered_sgpr, 17
	.set _Z25compute_potential_indicesPfPKiPKfS3_S3_iiii.num_named_barrier, 0
	.set _Z25compute_potential_indicesPfPKiPKfS3_S3_iiii.private_seg_size, 0
	.set _Z25compute_potential_indicesPfPKiPKfS3_S3_iiii.uses_vcc, 1
	.set _Z25compute_potential_indicesPfPKiPKfS3_S3_iiii.uses_flat_scratch, 0
	.set _Z25compute_potential_indicesPfPKiPKfS3_S3_iiii.has_dyn_sized_stack, 0
	.set _Z25compute_potential_indicesPfPKiPKfS3_S3_iiii.has_recursion, 0
	.set _Z25compute_potential_indicesPfPKiPKfS3_S3_iiii.has_indirect_call, 0
	.section	.AMDGPU.csdata,"",@progbits
; Kernel info:
; codeLenInByte = 1048
; TotalNumSgprs: 19
; NumVgprs: 13
; ScratchSize: 0
; MemoryBound: 0
; FloatMode: 240
; IeeeMode: 1
; LDSByteSize: 0 bytes/workgroup (compile time only)
; SGPRBlocks: 0
; VGPRBlocks: 0
; NumSGPRsForWavesPerEU: 19
; NumVGPRsForWavesPerEU: 13
; NamedBarCnt: 0
; Occupancy: 16
; WaveLimiterHint : 1
; COMPUTE_PGM_RSRC2:SCRATCH_EN: 0
; COMPUTE_PGM_RSRC2:USER_SGPR: 2
; COMPUTE_PGM_RSRC2:TRAP_HANDLER: 0
; COMPUTE_PGM_RSRC2:TGID_X_EN: 1
; COMPUTE_PGM_RSRC2:TGID_Y_EN: 0
; COMPUTE_PGM_RSRC2:TGID_Z_EN: 0
; COMPUTE_PGM_RSRC2:TIDIG_COMP_CNT: 0
	.text
	.protected	_Z20compute_kernel_tildePVffffii ; -- Begin function _Z20compute_kernel_tildePVffffii
	.globl	_Z20compute_kernel_tildePVffffii
	.p2align	8
	.type	_Z20compute_kernel_tildePVffffii,@function
_Z20compute_kernel_tildePVffffii:       ; @_Z20compute_kernel_tildePVffffii
; %bb.0:
	s_clause 0x1
	s_load_b32 s2, s[0:1], 0x2c
	s_load_b128 s[4:7], s[0:1], 0x8
	s_bfe_u32 s3, ttmp6, 0x4000c
	s_and_b32 s8, ttmp6, 15
	s_add_co_i32 s3, s3, 1
	s_getreg_b32 s9, hwreg(HW_REG_IB_STS2, 6, 4)
	s_mul_i32 s3, ttmp9, s3
	s_delay_alu instid0(SALU_CYCLE_1) | instskip(SKIP_4) | instid1(SALU_CYCLE_1)
	s_add_co_i32 s8, s8, s3
	s_wait_kmcnt 0x0
	s_and_b32 s2, s2, 0xffff
	s_cmp_eq_u32 s9, 0
	s_cselect_b32 s3, ttmp9, s8
	v_mad_u32 v0, s3, s2, v0
	s_mul_i32 s2, s7, s7
	s_delay_alu instid0(VALU_DEP_1) | instid1(SALU_CYCLE_1)
	v_cmp_gt_i32_e32 vcc_lo, s2, v0
	s_and_saveexec_b32 s2, vcc_lo
	s_cbranch_execz .LBB6_2
; %bb.1:
	s_abs_i32 s2, s7
	s_delay_alu instid0(SALU_CYCLE_1) | instskip(SKIP_1) | instid1(SALU_CYCLE_2)
	s_cvt_f32_u32 s3, s2
	s_sub_co_i32 s8, 0, s2
	v_rcp_iflag_f32_e32 v1, s3
	v_nop
	s_delay_alu instid0(TRANS32_DEP_1) | instskip(SKIP_2) | instid1(VALU_DEP_1)
	v_readfirstlane_b32 s3, v1
	v_sub_nc_u32_e32 v1, 0, v0
	s_mul_f32 s3, s3, 0x4f7ffffe
	v_max_i32_e32 v1, v0, v1
	s_delay_alu instid0(SALU_CYCLE_2) | instskip(NEXT) | instid1(SALU_CYCLE_3)
	s_cvt_u32_f32 s3, s3
	s_mul_i32 s8, s8, s3
	s_delay_alu instid0(SALU_CYCLE_1) | instskip(NEXT) | instid1(SALU_CYCLE_1)
	s_mul_hi_u32 s8, s3, s8
	s_add_co_i32 s3, s3, s8
	s_delay_alu instid0(SALU_CYCLE_1) | instskip(NEXT) | instid1(VALU_DEP_1)
	v_mul_hi_u32 v2, v1, s3
	v_mul_lo_u32 v3, v2, s2
	s_delay_alu instid0(VALU_DEP_1) | instskip(NEXT) | instid1(VALU_DEP_1)
	v_dual_sub_nc_u32 v1, v1, v3 :: v_dual_add_nc_u32 v3, 1, v2
	v_cmp_le_u32_e32 vcc_lo, s2, v1
	s_delay_alu instid0(VALU_DEP_2) | instskip(SKIP_1) | instid1(VALU_DEP_1)
	v_dual_cndmask_b32 v2, v2, v3, vcc_lo :: v_dual_bitop2_b32 v3, s7, v0 bitop3:0x14
	v_subrev_nc_u32_e32 v4, s2, v1
	v_dual_cndmask_b32 v1, v1, v4 :: v_dual_add_nc_u32 v4, 1, v2
	s_delay_alu instid0(VALU_DEP_1) | instskip(NEXT) | instid1(VALU_DEP_4)
	v_cmp_le_u32_e32 vcc_lo, s2, v1
	v_ashrrev_i32_e32 v3, 31, v3
	s_mul_f32 s2, s6, 0.5
	s_delay_alu instid0(VALU_DEP_3) | instskip(SKIP_1) | instid1(VALU_DEP_2)
	v_cndmask_b32_e32 v1, v2, v4, vcc_lo
	v_mov_b64_e32 v[4:5], s[4:5]
	v_xor_b32_e32 v1, v1, v3
	s_delay_alu instid0(VALU_DEP_2) | instskip(SKIP_1) | instid1(VALU_DEP_2)
	v_pk_add_f32 v[4:5], v[4:5], s[2:3] op_sel:[1,0] op_sel_hi:[0,0]
	s_mov_b32 s2, 0x3e76c4e1
	v_sub_nc_u32_e32 v2, v1, v3
	s_clause 0x1
	s_load_b64 s[4:5], s[0:1], 0x0
	s_load_b32 s3, s[0:1], 0x18
	s_delay_alu instid0(VALU_DEP_1) | instskip(NEXT) | instid1(VALU_DEP_1)
	v_mul_lo_u32 v1, v2, s7
	v_sub_nc_u32_e32 v0, v0, v1
	v_cvt_f32_i32_e32 v6, v2
	s_delay_alu instid0(VALU_DEP_2) | instskip(NEXT) | instid1(VALU_DEP_1)
	v_cvt_f32_i32_e32 v7, v0
	v_pk_fma_f32 v[6:7], s[6:7], v[6:7], v[4:5] op_sel_hi:[0,1,1]
	s_delay_alu instid0(VALU_DEP_1) | instskip(NEXT) | instid1(VALU_DEP_1)
	v_pk_add_f32 v[4:5], v[4:5], v[6:7] neg_lo:[0,1] neg_hi:[0,1]
	v_pk_mul_f32 v[4:5], v[4:5], v[4:5]
	s_delay_alu instid0(VALU_DEP_1) | instskip(NEXT) | instid1(VALU_DEP_1)
	v_add_f32_e32 v1, 1.0, v4
	v_add_f32_e32 v1, v1, v5
	s_delay_alu instid0(VALU_DEP_1) | instskip(NEXT) | instid1(VALU_DEP_1)
	v_frexp_mant_f32_e64 v3, |v1|
	v_cmp_gt_f32_e32 vcc_lo, 0x3f2aaaab, v3
	v_cndmask_b32_e64 v4, 1.0, 2.0, vcc_lo
	s_delay_alu instid0(VALU_DEP_1) | instskip(NEXT) | instid1(VALU_DEP_1)
	v_mul_f32_e32 v3, v3, v4
	v_dual_add_f32 v4, 1.0, v3 :: v_dual_add_f32 v5, -1.0, v3
	s_delay_alu instid0(VALU_DEP_1) | instskip(SKIP_1) | instid1(TRANS32_DEP_1)
	v_rcp_f32_e32 v10, v4
	v_nop
	v_dual_add_f32 v7, -1.0, v4 :: v_dual_mul_f32 v11, v5, v10
	s_delay_alu instid0(VALU_DEP_1) | instskip(NEXT) | instid1(VALU_DEP_2)
	v_mul_f32_e32 v6, v4, v11
	v_sub_f32_e32 v3, v3, v7
	s_delay_alu instid0(VALU_DEP_2) | instskip(NEXT) | instid1(VALU_DEP_1)
	v_fma_f32 v8, v11, v4, -v6
	v_fmac_f32_e32 v8, v11, v3
	s_delay_alu instid0(VALU_DEP_1) | instskip(NEXT) | instid1(VALU_DEP_1)
	v_add_f32_e32 v4, v6, v8
	v_dual_sub_f32 v7, v5, v4 :: v_dual_mov_b32 v9, v4
	s_delay_alu instid0(VALU_DEP_1) | instskip(NEXT) | instid1(VALU_DEP_1)
	v_pk_add_f32 v[4:5], v[4:5], v[6:7] neg_lo:[0,1] neg_hi:[0,1]
	v_pk_add_f32 v[4:5], v[4:5], v[8:9] neg_lo:[0,1] neg_hi:[0,1]
	s_delay_alu instid0(VALU_DEP_1) | instskip(NEXT) | instid1(VALU_DEP_1)
	v_add_f32_e32 v3, v4, v5
	v_add_f32_e32 v3, v7, v3
	s_delay_alu instid0(VALU_DEP_1) | instskip(NEXT) | instid1(VALU_DEP_1)
	v_mul_f32_e32 v3, v10, v3
	v_add_f32_e32 v4, v11, v3
	s_delay_alu instid0(VALU_DEP_1) | instskip(NEXT) | instid1(VALU_DEP_1)
	v_dual_sub_f32 v5, v4, v11 :: v_dual_mul_f32 v7, v4, v4
	v_dual_sub_f32 v3, v3, v5 :: v_dual_fma_f32 v5, v4, v4, -v7
	s_delay_alu instid0(VALU_DEP_1) | instskip(NEXT) | instid1(VALU_DEP_1)
	v_add_f32_e32 v6, v3, v3
	v_fmac_f32_e32 v5, v4, v6
	s_delay_alu instid0(VALU_DEP_1) | instskip(NEXT) | instid1(VALU_DEP_1)
	v_add_f32_e32 v6, v7, v5
	v_sub_f32_e32 v7, v6, v7
	s_delay_alu instid0(VALU_DEP_1) | instskip(SKIP_1) | instid1(VALU_DEP_1)
	v_sub_f32_e32 v14, v5, v7
	v_fmaak_f32 v8, s2, v6, 0x3e91f4c4
	v_fmaak_f32 v10, v6, v8, 0x3ecccdef
	v_cvt_f64_f32_e64 v[8:9], |v1|
	s_delay_alu instid0(VALU_DEP_2) | instskip(NEXT) | instid1(VALU_DEP_1)
	v_mul_f32_e32 v11, v6, v10
	v_fma_f32 v5, v6, v10, -v11
	s_delay_alu instid0(VALU_DEP_1) | instskip(NEXT) | instid1(VALU_DEP_1)
	v_fmac_f32_e32 v5, v14, v10
	v_add_f32_e32 v7, v11, v5
	s_delay_alu instid0(VALU_DEP_1) | instskip(SKIP_1) | instid1(VALU_DEP_1)
	v_sub_f32_e32 v10, v7, v11
	v_add_f32_e32 v11, 0x3f2aaaaa, v7
	v_dual_sub_f32 v5, v5, v10 :: v_dual_add_f32 v10, 0xbf2aaaaa, v11
	v_frexp_exp_i32_f64_e32 v15, v[8:9]
	s_delay_alu instid0(VALU_DEP_2) | instskip(NEXT) | instid1(VALU_DEP_3)
	v_add_f32_e32 v5, 0x31739010, v5
	v_sub_f32_e32 v7, v7, v10
	s_delay_alu instid0(VALU_DEP_1) | instskip(NEXT) | instid1(VALU_DEP_1)
	v_pk_mul_f32 v[8:9], v[4:5], v[6:7]
	v_fma_f32 v10, v6, v4, -v8
	v_pk_add_f32 v[12:13], v[4:5], v[6:7]
	s_delay_alu instid0(VALU_DEP_1) | instskip(SKIP_1) | instid1(VALU_DEP_2)
	v_dual_fmac_f32 v10, v6, v3 :: v_dual_mov_b32 v9, v13
	v_ldexp_f32 v3, v3, 1
	v_fmac_f32_e32 v10, v14, v4
	s_delay_alu instid0(VALU_DEP_1) | instskip(SKIP_1) | instid1(VALU_DEP_2)
	v_pk_add_f32 v[6:7], v[8:9], v[10:11]
	v_subrev_co_ci_u32_e64 v5, null, 0, v15, vcc_lo
	v_mov_b32_e32 v12, v7
	s_delay_alu instid0(VALU_DEP_3) | instskip(NEXT) | instid1(VALU_DEP_3)
	v_dual_sub_f32 v9, v11, v7 :: v_dual_sub_f32 v11, v6, v8
	v_cvt_f32_i32_e32 v5, v5
	v_cmp_eq_f32_e32 vcc_lo, 1.0, v1
	s_delay_alu instid0(VALU_DEP_4) | instskip(NEXT) | instid1(VALU_DEP_4)
	v_pk_mul_f32 v[14:15], v[6:7], v[12:13]
	v_sub_f32_e32 v10, v10, v11
	s_delay_alu instid0(VALU_DEP_2) | instskip(NEXT) | instid1(VALU_DEP_1)
	v_dual_fma_f32 v8, v6, v7, -v14 :: v_dual_add_f32 v9, v13, v9
	v_fmac_f32_e32 v8, v6, v9
	s_delay_alu instid0(VALU_DEP_1) | instskip(SKIP_2) | instid1(VALU_DEP_3)
	v_fmac_f32_e32 v8, v10, v7
	v_mul_f32_e32 v12, 0x3f317218, v5
	v_ldexp_f32 v7, v4, 1
	v_add_f32_e32 v13, v14, v8
	s_delay_alu instid0(VALU_DEP_3) | instskip(NEXT) | instid1(VALU_DEP_2)
	v_fma_f32 v6, 0x3f317218, v5, -v12
	v_dual_mov_b32 v15, v7 :: v_dual_mov_b32 v10, v13
	s_delay_alu instid0(VALU_DEP_2) | instskip(SKIP_1) | instid1(VALU_DEP_2)
	v_fmamk_f32 v6, v5, 0xb102e308, v6
	v_mov_b32_e32 v9, v13
	v_pk_add_f32 v[4:5], v[12:13], v[6:7]
	s_delay_alu instid0(VALU_DEP_1) | instskip(NEXT) | instid1(VALU_DEP_1)
	v_dual_mov_b32 v11, v5 :: v_dual_mov_b32 v7, v4
	v_pk_add_f32 v[10:11], v[10:11], v[14:15] neg_lo:[0,1] neg_hi:[0,1]
	s_delay_alu instid0(VALU_DEP_1) | instskip(NEXT) | instid1(VALU_DEP_1)
	v_pk_add_f32 v[8:9], v[8:9], v[10:11] neg_lo:[0,1] neg_hi:[0,1]
	v_add_f32_e32 v3, v3, v8
	s_delay_alu instid0(VALU_DEP_1) | instskip(NEXT) | instid1(VALU_DEP_1)
	v_add_f32_e32 v13, v3, v9
	v_pk_add_f32 v[8:9], v[4:5], v[12:13]
	v_pk_add_f32 v[10:11], v[4:5], v[12:13] neg_lo:[0,1] neg_hi:[0,1]
	s_delay_alu instid0(VALU_DEP_2) | instskip(NEXT) | instid1(VALU_DEP_1)
	v_dual_mov_b32 v18, v5 :: v_dual_mov_b32 v11, v9
	v_pk_add_f32 v[14:15], v[6:7], v[10:11]
	s_delay_alu instid0(VALU_DEP_1) | instskip(SKIP_1) | instid1(VALU_DEP_2)
	v_dual_mov_b32 v14, v9 :: v_dual_mov_b32 v12, v15
	v_pk_add_f32 v[6:7], v[6:7], v[10:11] neg_lo:[0,1] neg_hi:[0,1]
	v_pk_add_f32 v[16:17], v[12:13], v[4:5] neg_lo:[0,1] neg_hi:[0,1]
	v_dual_mov_b32 v5, v4 :: v_dual_mov_b32 v4, v13
	s_delay_alu instid0(VALU_DEP_2) | instskip(NEXT) | instid1(VALU_DEP_1)
	v_dual_mov_b32 v3, v16 :: v_dual_mov_b32 v19, v16
	v_pk_add_f32 v[8:9], v[8:9], v[2:3] neg_lo:[0,1] neg_hi:[0,1]
	s_delay_alu instid0(VALU_DEP_2) | instskip(SKIP_1) | instid1(VALU_DEP_2)
	v_pk_add_f32 v[10:11], v[14:15], v[18:19] neg_lo:[0,1] neg_hi:[0,1]
	v_mov_b32_e32 v8, v6
	v_pk_add_f32 v[4:5], v[4:5], v[10:11] neg_lo:[0,1] neg_hi:[0,1]
	s_delay_alu instid0(VALU_DEP_1) | instskip(NEXT) | instid1(VALU_DEP_1)
	v_pk_add_f32 v[8:9], v[8:9], v[4:5]
	v_mov_b32_e32 v10, v9
	s_delay_alu instid0(VALU_DEP_1) | instskip(NEXT) | instid1(VALU_DEP_1)
	v_pk_add_f32 v[10:11], v[8:9], v[10:11]
	v_pk_add_f32 v[12:13], v[12:13], v[10:11]
	s_delay_alu instid0(VALU_DEP_1) | instskip(NEXT) | instid1(VALU_DEP_1)
	v_dual_mov_b32 v7, v15 :: v_dual_mov_b32 v9, v12
	v_pk_add_f32 v[14:15], v[8:9], v[6:7] neg_lo:[0,1] neg_hi:[0,1]
	s_delay_alu instid0(VALU_DEP_1) | instskip(NEXT) | instid1(VALU_DEP_1)
	v_dual_mov_b32 v5, v10 :: v_dual_sub_f32 v3, v8, v14
	v_pk_add_f32 v[4:5], v[4:5], v[14:15] neg_lo:[0,1] neg_hi:[0,1]
	s_delay_alu instid0(VALU_DEP_2) | instskip(NEXT) | instid1(VALU_DEP_1)
	v_sub_f32_e32 v3, v6, v3
	v_add_f32_e32 v3, v4, v3
	s_delay_alu instid0(VALU_DEP_1) | instskip(SKIP_1) | instid1(VALU_DEP_2)
	v_add_f32_e32 v3, v3, v5
	v_cndmask_b32_e64 v5, -2.0, 1.0, vcc_lo
	v_add_f32_e32 v4, v12, v3
	s_wait_xcnt 0x0
	s_delay_alu instid0(VALU_DEP_2) | instskip(NEXT) | instid1(VALU_DEP_2)
	v_cmp_gt_f32_e64 s0, 0, v5
	v_sub_f32_e32 v6, v4, v12
	v_mul_f32_e32 v7, v5, v4
	s_delay_alu instid0(VALU_DEP_1) | instskip(SKIP_1) | instid1(VALU_DEP_2)
	v_dual_fma_f32 v4, v5, v4, -v7 :: v_dual_sub_f32 v3, v3, v6
	v_cmp_class_f32_e64 vcc_lo, v7, 0x204
	v_fmac_f32_e32 v4, v5, v3
	s_delay_alu instid0(VALU_DEP_1) | instskip(NEXT) | instid1(VALU_DEP_1)
	v_add_f32_e32 v3, v7, v4
	v_cndmask_b32_e32 v6, v3, v7, vcc_lo
	s_delay_alu instid0(VALU_DEP_1) | instskip(SKIP_2) | instid1(VALU_DEP_2)
	v_cmp_eq_f32_e32 vcc_lo, 0x42b17218, v6
	v_cndmask_b32_e64 v8, 0, 0x37000000, vcc_lo
	v_cmp_eq_f32_e32 vcc_lo, 0, v1
	v_sub_f32_e32 v9, v6, v8
	s_xor_b32 s0, vcc_lo, s0
	s_delay_alu instid0(VALU_DEP_1) | instskip(SKIP_1) | instid1(VALU_DEP_2)
	v_dual_mul_f32 v10, 0x3fb8aa3b, v9 :: v_dual_sub_f32 v3, v3, v7
	v_cmp_nlt_f32_e64 s2, 0x42b17218, v9
	v_fma_f32 v11, 0x3fb8aa3b, v9, -v10
	v_rndne_f32_e32 v12, v10
	s_delay_alu instid0(VALU_DEP_4) | instskip(NEXT) | instid1(VALU_DEP_2)
	v_dual_sub_f32 v3, v4, v3 :: v_dual_mul_f32 v4, 0.5, v5
	v_dual_fmamk_f32 v11, v9, 0x32a5705f, v11 :: v_dual_sub_f32 v10, v10, v12
	v_cmp_neq_f32_e64 s1, 0x7f800000, |v6|
	s_delay_alu instid0(VALU_DEP_2) | instskip(SKIP_2) | instid1(VALU_DEP_3)
	v_add_f32_e32 v10, v10, v11
	v_cvt_i32_f32_e32 v11, v12
	v_trunc_f32_e32 v12, v5
	v_exp_f32_e32 v7, v10
	v_dual_add_nc_u32 v10, s7, v2 :: v_dual_sub_nc_u32 v2, s7, v2
	v_cndmask_b32_e64 v3, 0, v3, s1
	v_cmp_ngt_f32_e64 s1, 0xc2ce8ed0, v9
	s_delay_alu instid0(TRANS32_DEP_1) | instskip(SKIP_2) | instid1(VALU_DEP_2)
	v_ldexp_f32 v7, v7, v11
	s_wait_kmcnt 0x0
	v_mul_lo_u32 v2, v2, s3
	v_cndmask_b32_e64 v6, 0, v7, s1
	v_trunc_f32_e32 v7, v4
	v_cmp_eq_f32_e64 s1, v12, v5
	s_delay_alu instid0(VALU_DEP_3) | instskip(NEXT) | instid1(VALU_DEP_3)
	v_cndmask_b32_e64 v5, 0x7f800000, v6, s2
	v_cmp_neq_f32_e64 s2, v7, v4
	v_cndmask_b32_e64 v4, 0x7f800000, 0, s0
	s_and_b32 s0, s1, s2
	s_delay_alu instid0(SALU_CYCLE_1) | instskip(SKIP_2) | instid1(VALU_DEP_3)
	v_dual_add_f32 v3, v8, v3 :: v_dual_cndmask_b32 v6, 1.0, v1, s0
	v_cndmask_b32_e64 v7, 0, v1, s0
	v_cmp_class_f32_e64 s0, v5, 0x204
	v_fma_f32 v3, v5, v3, v5
	s_delay_alu instid0(VALU_DEP_3) | instskip(NEXT) | instid1(VALU_DEP_2)
	v_bfi_b32 v4, 0x7fffffff, v4, v7
	v_cndmask_b32_e64 v3, v3, v5, s0
	v_cmp_class_f32_e64 s0, v1, 0x204
	v_mul_lo_u32 v5, v10, s3
	s_delay_alu instid0(VALU_DEP_3) | instskip(SKIP_2) | instid1(VALU_DEP_2)
	v_bfi_b32 v3, 0x7fffffff, v3, v6
	s_or_b32 vcc_lo, vcc_lo, s0
	v_dual_add_nc_u32 v6, s7, v0 :: v_dual_sub_nc_u32 v0, s7, v0
	v_cndmask_b32_e32 v3, v3, v4, vcc_lo
	v_cmp_o_f32_e32 vcc_lo, v1, v1
	s_delay_alu instid0(VALU_DEP_3) | instskip(NEXT) | instid1(VALU_DEP_3)
	v_dual_add_nc_u32 v4, v5, v6 :: v_dual_add_nc_u32 v5, v5, v0
	v_dual_cndmask_b32 v1, 0x7fc00000, v3 :: v_dual_add_nc_u32 v0, v2, v0
	v_add_nc_u32_e32 v3, v2, v6
	flat_store_b32 v4, v1, s[4:5] scale_offset scope:SCOPE_SYS
	s_wait_storecnt 0x0
	flat_store_b32 v3, v1, s[4:5] scale_offset scope:SCOPE_SYS
	s_wait_storecnt 0x0
	;; [unrolled: 2-line block ×4, first 2 shown]
.LBB6_2:
	s_endpgm
	.section	.rodata,"a",@progbits
	.p2align	6, 0x0
	.amdhsa_kernel _Z20compute_kernel_tildePVffffii
		.amdhsa_group_segment_fixed_size 0
		.amdhsa_private_segment_fixed_size 0
		.amdhsa_kernarg_size 288
		.amdhsa_user_sgpr_count 2
		.amdhsa_user_sgpr_dispatch_ptr 0
		.amdhsa_user_sgpr_queue_ptr 0
		.amdhsa_user_sgpr_kernarg_segment_ptr 1
		.amdhsa_user_sgpr_dispatch_id 0
		.amdhsa_user_sgpr_kernarg_preload_length 0
		.amdhsa_user_sgpr_kernarg_preload_offset 0
		.amdhsa_user_sgpr_private_segment_size 0
		.amdhsa_wavefront_size32 1
		.amdhsa_uses_dynamic_stack 0
		.amdhsa_enable_private_segment 0
		.amdhsa_system_sgpr_workgroup_id_x 1
		.amdhsa_system_sgpr_workgroup_id_y 0
		.amdhsa_system_sgpr_workgroup_id_z 0
		.amdhsa_system_sgpr_workgroup_info 0
		.amdhsa_system_vgpr_workitem_id 0
		.amdhsa_next_free_vgpr 20
		.amdhsa_next_free_sgpr 10
		.amdhsa_named_barrier_count 0
		.amdhsa_reserve_vcc 1
		.amdhsa_float_round_mode_32 0
		.amdhsa_float_round_mode_16_64 0
		.amdhsa_float_denorm_mode_32 3
		.amdhsa_float_denorm_mode_16_64 3
		.amdhsa_fp16_overflow 0
		.amdhsa_memory_ordered 1
		.amdhsa_forward_progress 1
		.amdhsa_inst_pref_size 14
		.amdhsa_round_robin_scheduling 0
		.amdhsa_exception_fp_ieee_invalid_op 0
		.amdhsa_exception_fp_denorm_src 0
		.amdhsa_exception_fp_ieee_div_zero 0
		.amdhsa_exception_fp_ieee_overflow 0
		.amdhsa_exception_fp_ieee_underflow 0
		.amdhsa_exception_fp_ieee_inexact 0
		.amdhsa_exception_int_div_zero 0
	.end_amdhsa_kernel
	.text
.Lfunc_end6:
	.size	_Z20compute_kernel_tildePVffffii, .Lfunc_end6-_Z20compute_kernel_tildePVffffii
                                        ; -- End function
	.set _Z20compute_kernel_tildePVffffii.num_vgpr, 20
	.set _Z20compute_kernel_tildePVffffii.num_agpr, 0
	.set _Z20compute_kernel_tildePVffffii.numbered_sgpr, 10
	.set _Z20compute_kernel_tildePVffffii.num_named_barrier, 0
	.set _Z20compute_kernel_tildePVffffii.private_seg_size, 0
	.set _Z20compute_kernel_tildePVffffii.uses_vcc, 1
	.set _Z20compute_kernel_tildePVffffii.uses_flat_scratch, 0
	.set _Z20compute_kernel_tildePVffffii.has_dyn_sized_stack, 0
	.set _Z20compute_kernel_tildePVffffii.has_recursion, 0
	.set _Z20compute_kernel_tildePVffffii.has_indirect_call, 0
	.section	.AMDGPU.csdata,"",@progbits
; Kernel info:
; codeLenInByte = 1752
; TotalNumSgprs: 12
; NumVgprs: 20
; ScratchSize: 0
; MemoryBound: 0
; FloatMode: 240
; IeeeMode: 1
; LDSByteSize: 0 bytes/workgroup (compile time only)
; SGPRBlocks: 0
; VGPRBlocks: 1
; NumSGPRsForWavesPerEU: 12
; NumVGPRsForWavesPerEU: 20
; NamedBarCnt: 0
; Occupancy: 16
; WaveLimiterHint : 0
; COMPUTE_PGM_RSRC2:SCRATCH_EN: 0
; COMPUTE_PGM_RSRC2:USER_SGPR: 2
; COMPUTE_PGM_RSRC2:TRAP_HANDLER: 0
; COMPUTE_PGM_RSRC2:TGID_X_EN: 1
; COMPUTE_PGM_RSRC2:TGID_Y_EN: 0
; COMPUTE_PGM_RSRC2:TGID_Z_EN: 0
; COMPUTE_PGM_RSRC2:TIDIG_COMP_CNT: 0
	.text
	.protected	_Z30compute_upper_and_lower_boundsPVfS0_fffii ; -- Begin function _Z30compute_upper_and_lower_boundsPVfS0_fffii
	.globl	_Z30compute_upper_and_lower_boundsPVfS0_fffii
	.p2align	8
	.type	_Z30compute_upper_and_lower_boundsPVfS0_fffii,@function
_Z30compute_upper_and_lower_boundsPVfS0_fffii: ; @_Z30compute_upper_and_lower_boundsPVfS0_fffii
; %bb.0:
	s_clause 0x1
	s_load_b32 s2, s[0:1], 0x34
	s_load_b128 s[4:7], s[0:1], 0x10
	s_bfe_u32 s3, ttmp6, 0x4000c
	s_and_b32 s8, ttmp6, 15
	s_add_co_i32 s3, s3, 1
	s_getreg_b32 s9, hwreg(HW_REG_IB_STS2, 6, 4)
	s_mul_i32 s3, ttmp9, s3
	s_delay_alu instid0(SALU_CYCLE_1) | instskip(SKIP_4) | instid1(SALU_CYCLE_1)
	s_add_co_i32 s8, s8, s3
	s_wait_kmcnt 0x0
	s_and_b32 s2, s2, 0xffff
	s_cmp_eq_u32 s9, 0
	s_cselect_b32 s3, ttmp9, s8
	v_mad_u32 v0, s3, s2, v0
	s_mul_i32 s2, s7, s7
	s_delay_alu instid0(VALU_DEP_1) | instid1(SALU_CYCLE_1)
	v_cmp_gt_i32_e32 vcc_lo, s2, v0
	s_and_saveexec_b32 s2, vcc_lo
	s_cbranch_execz .LBB7_2
; %bb.1:
	s_abs_i32 s2, s7
	s_delay_alu instid0(SALU_CYCLE_1) | instskip(SKIP_1) | instid1(SALU_CYCLE_2)
	s_cvt_f32_u32 s3, s2
	s_sub_co_i32 s8, 0, s2
	v_rcp_iflag_f32_e32 v1, s3
	v_nop
	s_delay_alu instid0(TRANS32_DEP_1) | instskip(SKIP_2) | instid1(VALU_DEP_1)
	v_readfirstlane_b32 s3, v1
	v_sub_nc_u32_e32 v1, 0, v0
	s_mul_f32 s3, s3, 0x4f7ffffe
	v_max_i32_e32 v1, v0, v1
	s_delay_alu instid0(SALU_CYCLE_2) | instskip(NEXT) | instid1(SALU_CYCLE_3)
	s_cvt_u32_f32 s3, s3
	s_mul_i32 s8, s8, s3
	s_delay_alu instid0(SALU_CYCLE_1) | instskip(NEXT) | instid1(SALU_CYCLE_1)
	s_mul_hi_u32 s8, s3, s8
	s_add_co_i32 s3, s3, s8
	s_delay_alu instid0(SALU_CYCLE_1) | instskip(NEXT) | instid1(VALU_DEP_1)
	v_mul_hi_u32 v2, v1, s3
	v_mul_lo_u32 v3, v2, s2
	s_delay_alu instid0(VALU_DEP_1) | instskip(NEXT) | instid1(VALU_DEP_1)
	v_dual_sub_nc_u32 v1, v1, v3 :: v_dual_add_nc_u32 v3, 1, v2
	v_cmp_le_u32_e32 vcc_lo, s2, v1
	s_delay_alu instid0(VALU_DEP_2) | instskip(SKIP_1) | instid1(VALU_DEP_1)
	v_dual_cndmask_b32 v2, v2, v3, vcc_lo :: v_dual_bitop2_b32 v3, s7, v0 bitop3:0x14
	v_subrev_nc_u32_e32 v4, s2, v1
	v_dual_cndmask_b32 v1, v1, v4 :: v_dual_add_nc_u32 v4, 1, v2
	s_delay_alu instid0(VALU_DEP_1) | instskip(NEXT) | instid1(VALU_DEP_4)
	v_cmp_le_u32_e32 vcc_lo, s2, v1
	v_ashrrev_i32_e32 v3, 31, v3
	s_clause 0x1
	s_load_b32 s2, s[0:1], 0x20
	s_load_b128 s[8:11], s[0:1], 0x0
	v_cndmask_b32_e32 v1, v2, v4, vcc_lo
	s_delay_alu instid0(VALU_DEP_1) | instskip(NEXT) | instid1(VALU_DEP_1)
	v_xor_b32_e32 v1, v1, v3
	v_sub_nc_u32_e32 v1, v1, v3
	s_delay_alu instid0(VALU_DEP_1) | instskip(SKIP_1) | instid1(VALU_DEP_1)
	v_mul_lo_u32 v2, v1, s7
	s_wait_kmcnt 0x0
	v_dual_add_nc_u32 v5, s2, v0 :: v_dual_sub_nc_u32 v2, v0, v2
	s_delay_alu instid0(VALU_DEP_1) | instskip(SKIP_2) | instid1(VALU_DEP_3)
	v_dual_add_nc_u32 v3, 1, v2 :: v_dual_add_nc_u32 v4, 1, v1
	v_cvt_f32_i32_e32 v2, v2
	v_cvt_f32_i32_e32 v1, v1
	;; [unrolled: 1-line block ×3, first 2 shown]
	s_delay_alu instid0(VALU_DEP_4) | instskip(NEXT) | instid1(VALU_DEP_4)
	v_cvt_f32_i32_e32 v4, v4
	v_fma_f32 v2, s4, v2, s5
	s_delay_alu instid0(VALU_DEP_4) | instskip(NEXT) | instid1(VALU_DEP_4)
	v_fma_f32 v1, s4, v1, s6
	v_fma_f32 v3, s4, v3, s5
	s_delay_alu instid0(VALU_DEP_4)
	v_fma_f32 v4, s4, v4, s6
	flat_store_b32 v0, v2, s[10:11] scale_offset scope:SCOPE_SYS
	s_wait_storecnt 0x0
	flat_store_b32 v0, v3, s[8:9] scale_offset scope:SCOPE_SYS
	s_wait_storecnt 0x0
	;; [unrolled: 2-line block ×4, first 2 shown]
.LBB7_2:
	s_endpgm
	.section	.rodata,"a",@progbits
	.p2align	6, 0x0
	.amdhsa_kernel _Z30compute_upper_and_lower_boundsPVfS0_fffii
		.amdhsa_group_segment_fixed_size 0
		.amdhsa_private_segment_fixed_size 0
		.amdhsa_kernarg_size 296
		.amdhsa_user_sgpr_count 2
		.amdhsa_user_sgpr_dispatch_ptr 0
		.amdhsa_user_sgpr_queue_ptr 0
		.amdhsa_user_sgpr_kernarg_segment_ptr 1
		.amdhsa_user_sgpr_dispatch_id 0
		.amdhsa_user_sgpr_kernarg_preload_length 0
		.amdhsa_user_sgpr_kernarg_preload_offset 0
		.amdhsa_user_sgpr_private_segment_size 0
		.amdhsa_wavefront_size32 1
		.amdhsa_uses_dynamic_stack 0
		.amdhsa_enable_private_segment 0
		.amdhsa_system_sgpr_workgroup_id_x 1
		.amdhsa_system_sgpr_workgroup_id_y 0
		.amdhsa_system_sgpr_workgroup_id_z 0
		.amdhsa_system_sgpr_workgroup_info 0
		.amdhsa_system_vgpr_workitem_id 0
		.amdhsa_next_free_vgpr 6
		.amdhsa_next_free_sgpr 12
		.amdhsa_named_barrier_count 0
		.amdhsa_reserve_vcc 1
		.amdhsa_float_round_mode_32 0
		.amdhsa_float_round_mode_16_64 0
		.amdhsa_float_denorm_mode_32 3
		.amdhsa_float_denorm_mode_16_64 3
		.amdhsa_fp16_overflow 0
		.amdhsa_memory_ordered 1
		.amdhsa_forward_progress 1
		.amdhsa_inst_pref_size 4
		.amdhsa_round_robin_scheduling 0
		.amdhsa_exception_fp_ieee_invalid_op 0
		.amdhsa_exception_fp_denorm_src 0
		.amdhsa_exception_fp_ieee_div_zero 0
		.amdhsa_exception_fp_ieee_overflow 0
		.amdhsa_exception_fp_ieee_underflow 0
		.amdhsa_exception_fp_ieee_inexact 0
		.amdhsa_exception_int_div_zero 0
	.end_amdhsa_kernel
	.text
.Lfunc_end7:
	.size	_Z30compute_upper_and_lower_boundsPVfS0_fffii, .Lfunc_end7-_Z30compute_upper_and_lower_boundsPVfS0_fffii
                                        ; -- End function
	.set _Z30compute_upper_and_lower_boundsPVfS0_fffii.num_vgpr, 6
	.set _Z30compute_upper_and_lower_boundsPVfS0_fffii.num_agpr, 0
	.set _Z30compute_upper_and_lower_boundsPVfS0_fffii.numbered_sgpr, 12
	.set _Z30compute_upper_and_lower_boundsPVfS0_fffii.num_named_barrier, 0
	.set _Z30compute_upper_and_lower_boundsPVfS0_fffii.private_seg_size, 0
	.set _Z30compute_upper_and_lower_boundsPVfS0_fffii.uses_vcc, 1
	.set _Z30compute_upper_and_lower_boundsPVfS0_fffii.uses_flat_scratch, 0
	.set _Z30compute_upper_and_lower_boundsPVfS0_fffii.has_dyn_sized_stack, 0
	.set _Z30compute_upper_and_lower_boundsPVfS0_fffii.has_recursion, 0
	.set _Z30compute_upper_and_lower_boundsPVfS0_fffii.has_indirect_call, 0
	.section	.AMDGPU.csdata,"",@progbits
; Kernel info:
; codeLenInByte = 460
; TotalNumSgprs: 14
; NumVgprs: 6
; ScratchSize: 0
; MemoryBound: 0
; FloatMode: 240
; IeeeMode: 1
; LDSByteSize: 0 bytes/workgroup (compile time only)
; SGPRBlocks: 0
; VGPRBlocks: 0
; NumSGPRsForWavesPerEU: 14
; NumVGPRsForWavesPerEU: 6
; NamedBarCnt: 0
; Occupancy: 16
; WaveLimiterHint : 0
; COMPUTE_PGM_RSRC2:SCRATCH_EN: 0
; COMPUTE_PGM_RSRC2:USER_SGPR: 2
; COMPUTE_PGM_RSRC2:TRAP_HANDLER: 0
; COMPUTE_PGM_RSRC2:TGID_X_EN: 1
; COMPUTE_PGM_RSRC2:TGID_Y_EN: 0
; COMPUTE_PGM_RSRC2:TGID_Z_EN: 0
; COMPUTE_PGM_RSRC2:TIDIG_COMP_CNT: 0
	.text
	.protected	_Z9DFT2D1gpuPfPN6thrust23THRUST_200600_302600_NS7complexIfEEii ; -- Begin function _Z9DFT2D1gpuPfPN6thrust23THRUST_200600_302600_NS7complexIfEEii
	.globl	_Z9DFT2D1gpuPfPN6thrust23THRUST_200600_302600_NS7complexIfEEii
	.p2align	8
	.type	_Z9DFT2D1gpuPfPN6thrust23THRUST_200600_302600_NS7complexIfEEii,@function
_Z9DFT2D1gpuPfPN6thrust23THRUST_200600_302600_NS7complexIfEEii: ; @_Z9DFT2D1gpuPfPN6thrust23THRUST_200600_302600_NS7complexIfEEii
; %bb.0:
	s_clause 0x1
	s_load_b32 s2, s[0:1], 0x24
	s_load_b64 s[8:9], s[0:1], 0x10
	s_bfe_u32 s4, ttmp6, 0x4000c
	s_bfe_u32 s5, ttmp6, 0x40010
	s_add_co_i32 s4, s4, 1
	s_add_co_i32 s5, s5, 1
	s_and_b32 s3, ttmp6, 15
	s_bfe_u32 s6, ttmp6, 0x40004
	s_mul_i32 s4, ttmp9, s4
	s_mul_i32 s5, ttmp7, s5
	s_getreg_b32 s7, hwreg(HW_REG_IB_STS2, 6, 4)
	v_bfe_u32 v1, v0, 10, 10
	v_and_b32_e32 v0, 0x3ff, v0
	s_add_co_i32 s3, s3, s4
	s_add_co_i32 s6, s6, s5
	s_wait_kmcnt 0x0
	s_lshr_b32 s4, s2, 16
	s_and_b32 s2, s2, 0xffff
	s_cmp_eq_u32 s7, 0
	s_cselect_b32 s5, ttmp7, s6
	s_cselect_b32 s3, ttmp9, s3
	v_mad_u32 v4, s5, s4, v1
	v_mad_u32 v5, s3, s2, v0
	s_delay_alu instid0(VALU_DEP_2) | instskip(NEXT) | instid1(VALU_DEP_2)
	v_cmp_gt_i32_e32 vcc_lo, s8, v4
	v_cmp_gt_i32_e64 s2, s9, v5
	s_and_b32 s2, vcc_lo, s2
	s_delay_alu instid0(SALU_CYCLE_1)
	s_and_saveexec_b32 s3, s2
	s_cbranch_execz .LBB8_10
; %bb.1:
	s_load_b128 s[4:7], s[0:1], 0x0
	s_cmp_lt_i32 s9, 1
	s_cbranch_scc1 .LBB8_8
; %bb.2:
	v_cvt_f32_i32_e32 v0, v5
	s_wait_xcnt 0x0
	s_cvt_f32_i32 s0, s9
	s_mov_b32 s10, 0
	s_mov_b64 s[2:3], 0xfe5163ab
	s_mov_b32 s11, 0x7fffff
	v_div_scale_f32 v1, null, s0, s0, v0
	v_div_scale_f32 v6, vcc_lo, v0, s0, v0
	s_mov_b32 s12, 0xb94c1982
	v_rcp_f32_e32 v2, v1
	s_mov_b32 s13, 0x37d75334
	v_nop
	s_delay_alu instid0(TRANS32_DEP_1) | instskip(NEXT) | instid1(VALU_DEP_1)
	v_fma_f32 v3, -v1, v2, 1.0
	v_fmac_f32_e32 v2, v3, v2
	s_delay_alu instid0(VALU_DEP_1) | instskip(NEXT) | instid1(VALU_DEP_1)
	v_mul_f32_e32 v3, v6, v2
	v_fma_f32 v7, -v1, v3, v6
	s_delay_alu instid0(VALU_DEP_1) | instskip(NEXT) | instid1(VALU_DEP_1)
	v_fmac_f32_e32 v3, v7, v2
	v_fma_f32 v1, -v1, v3, v6
	v_mul_lo_u32 v6, v4, s9
	s_delay_alu instid0(VALU_DEP_2) | instskip(SKIP_1) | instid1(VALU_DEP_2)
	v_div_fmas_f32 v1, v1, v2, v3
	v_mov_b32_e32 v3, 0
	v_div_fixup_f32 v1, v1, s0, v0
	s_delay_alu instid0(VALU_DEP_1)
	v_dual_mov_b32 v0, v3 :: v_dual_mul_f32 v7, 0xc0c90fdb, v1
	v_mov_b32_e32 v1, v3
	s_branch .LBB8_4
.LBB8_3:                                ;   in Loop: Header=BB8_4 Depth=1
	s_or_b32 exec_lo, exec_lo, s0
	v_add_nc_u32_e32 v11, s10, v6
	s_delay_alu instid0(VALU_DEP_2)
	v_and_b32_e32 v15, 1, v10
	s_add_co_i32 s10, s10, 1
	v_lshlrev_b32_e32 v10, 30, v10
	s_cmp_eq_u32 s9, s10
	s_wait_kmcnt 0x0
	global_load_b32 v12, v11, s[4:5] scale_offset
	s_wait_xcnt 0x0
	v_mul_f32_e32 v11, v2, v2
	v_cmp_eq_u32_e32 vcc_lo, 0, v15
	v_and_b32_e32 v10, 0x80000000, v10
	s_delay_alu instid0(VALU_DEP_3) | instskip(NEXT) | instid1(VALU_DEP_1)
	v_fmaak_f32 v13, s12, v11, 0x3c0881c4
	v_fmaak_f32 v13, v11, v13, 0xbe2aaa9d
	s_delay_alu instid0(VALU_DEP_1) | instskip(NEXT) | instid1(VALU_DEP_1)
	v_dual_fmaak_f32 v14, s13, v11, 0xbab64f3b :: v_dual_mul_f32 v13, v11, v13
	v_fmaak_f32 v14, v11, v14, 0x3d2aabf7
	s_delay_alu instid0(VALU_DEP_2) | instskip(NEXT) | instid1(VALU_DEP_2)
	v_fmac_f32_e32 v2, v2, v13
	v_fmaak_f32 v14, v11, v14, 0xbf000004
	s_delay_alu instid0(VALU_DEP_1) | instskip(NEXT) | instid1(VALU_DEP_1)
	v_fma_f32 v11, v11, v14, 1.0
	v_cndmask_b32_e32 v13, v11, v2, vcc_lo
	v_xor_b32_e32 v2, 0x80000000, v2
	s_delay_alu instid0(VALU_DEP_2) | instskip(NEXT) | instid1(VALU_DEP_2)
	v_xor3_b32 v9, v9, v8, v13
	v_cndmask_b32_e32 v2, v2, v11, vcc_lo
	v_cmp_class_f32_e64 vcc_lo, v8, 0x1f8
	s_delay_alu instid0(VALU_DEP_3) | instskip(NEXT) | instid1(VALU_DEP_3)
	v_xor_b32_e32 v9, v9, v10
	v_xor_b32_e32 v2, v2, v10
	s_delay_alu instid0(VALU_DEP_2) | instskip(NEXT) | instid1(VALU_DEP_2)
	v_cndmask_b32_e32 v9, 0x7fc00000, v9, vcc_lo
	v_cndmask_b32_e32 v8, 0x7fc00000, v2, vcc_lo
	s_wait_loadcnt 0x0
	s_delay_alu instid0(VALU_DEP_1)
	v_pk_fma_f32 v[0:1], v[12:13], v[8:9], v[0:1] op_sel_hi:[0,1,1]
	s_cbranch_scc1 .LBB8_9
.LBB8_4:                                ; =>This Inner Loop Header: Depth=1
	s_cvt_f32_u32 s0, s10
                                        ; implicit-def: $vgpr10
                                        ; implicit-def: $vgpr2
	s_mov_b32 s1, exec_lo
	s_delay_alu instid0(SALU_CYCLE_2) | instskip(NEXT) | instid1(VALU_DEP_1)
	v_mul_f32_e32 v8, s0, v7
	v_and_b32_e32 v9, 0x7fffffff, v8
	v_cmpx_ngt_f32_e64 0x48000000, |v8|
	s_xor_b32 s14, exec_lo, s1
	s_cbranch_execz .LBB8_6
; %bb.5:                                ;   in Loop: Header=BB8_4 Depth=1
	s_delay_alu instid0(VALU_DEP_2) | instskip(SKIP_1) | instid1(VALU_DEP_2)
	v_and_or_b32 v2, v9, s11, 0x800000
	v_dual_mov_b32 v21, v3 :: v_dual_mov_b32 v23, v3
	v_mul_u64_e32 v[10:11], s[2:3], v[2:3]
	s_delay_alu instid0(VALU_DEP_1) | instskip(SKIP_1) | instid1(VALU_DEP_2)
	v_dual_mov_b32 v13, v3 :: v_dual_mov_b32 v12, v11
	v_lshrrev_b32_e32 v11, 23, v9
	v_mad_nc_u64_u32 v[12:13], 0x3c439041, v2, v[12:13]
	v_mov_b32_e32 v15, v3
	s_delay_alu instid0(VALU_DEP_3) | instskip(NEXT) | instid1(VALU_DEP_1)
	v_add_nc_u32_e32 v11, 0xffffff88, v11
	v_cmp_lt_u32_e32 vcc_lo, 63, v11
	s_delay_alu instid0(VALU_DEP_4) | instskip(SKIP_1) | instid1(VALU_DEP_2)
	v_mov_b32_e32 v14, v13
	v_cndmask_b32_e64 v13, 0, 0xffffffc0, vcc_lo
	v_mad_nc_u64_u32 v[14:15], 0xdb629599, v2, v[14:15]
	s_delay_alu instid0(VALU_DEP_2) | instskip(NEXT) | instid1(VALU_DEP_1)
	v_dual_mov_b32 v17, v3 :: v_dual_add_nc_u32 v11, v13, v11
	v_cmp_lt_u32_e64 s0, 31, v11
	s_delay_alu instid0(VALU_DEP_3) | instskip(NEXT) | instid1(VALU_DEP_2)
	v_mov_b32_e32 v16, v15
	v_cndmask_b32_e64 v13, 0, 0xffffffe0, s0
	v_cndmask_b32_e32 v10, v14, v10, vcc_lo
	s_delay_alu instid0(VALU_DEP_3) | instskip(NEXT) | instid1(VALU_DEP_1)
	v_mad_nc_u64_u32 v[16:17], 0xf534ddc0, v2, v[16:17]
	v_dual_mov_b32 v19, v3 :: v_dual_mov_b32 v18, v17
	s_delay_alu instid0(VALU_DEP_1) | instskip(NEXT) | instid1(VALU_DEP_1)
	v_mad_nc_u64_u32 v[18:19], 0xfc2757d1, v2, v[18:19]
	v_mov_b32_e32 v20, v19
	s_delay_alu instid0(VALU_DEP_1) | instskip(NEXT) | instid1(VALU_DEP_1)
	v_mad_nc_u64_u32 v[20:21], 0x4e441529, v2, v[20:21]
	v_mov_b32_e32 v22, v21
	s_delay_alu instid0(VALU_DEP_1) | instskip(NEXT) | instid1(VALU_DEP_3)
	v_mad_nc_u64_u32 v[22:23], 0xa2f9836e, v2, v[22:23]
	v_dual_cndmask_b32 v13, v20, v16 :: v_dual_add_nc_u32 v2, v13, v11
	s_delay_alu instid0(VALU_DEP_2) | instskip(NEXT) | instid1(VALU_DEP_2)
	v_cndmask_b32_e32 v15, v22, v18, vcc_lo
	v_cmp_lt_u32_e64 s1, 31, v2
	s_delay_alu instid0(VALU_DEP_4) | instskip(NEXT) | instid1(VALU_DEP_2)
	v_dual_cndmask_b32 v17, v23, v20 :: v_dual_cndmask_b32 v18, v18, v14
	v_cndmask_b32_e64 v11, 0, 0xffffffe0, s1
	s_delay_alu instid0(VALU_DEP_1) | instskip(NEXT) | instid1(VALU_DEP_3)
	v_dual_cndmask_b32 v11, v16, v12 :: v_dual_add_nc_u32 v2, v11, v2
	v_dual_cndmask_b32 v12, v15, v13, s0 :: v_dual_cndmask_b32 v15, v17, v15, s0
	s_delay_alu instid0(VALU_DEP_4) | instskip(NEXT) | instid1(VALU_DEP_3)
	v_cndmask_b32_e64 v13, v13, v18, s0
	v_dual_sub_nc_u32 v16, 32, v2 :: v_dual_cndmask_b32 v17, v18, v11, s0
	v_cmp_eq_u32_e32 vcc_lo, 0, v2
	s_delay_alu instid0(VALU_DEP_3) | instskip(NEXT) | instid1(VALU_DEP_1)
	v_dual_cndmask_b32 v15, v15, v12, s1 :: v_dual_cndmask_b32 v12, v12, v13, s1
	v_alignbit_b32 v18, v15, v12, v16
	s_delay_alu instid0(VALU_DEP_1) | instskip(NEXT) | instid1(VALU_DEP_1)
	v_dual_cndmask_b32 v13, v13, v17, s1 :: v_dual_cndmask_b32 v2, v18, v15, vcc_lo
	v_alignbit_b32 v14, v12, v13, v16
	s_delay_alu instid0(VALU_DEP_1) | instskip(NEXT) | instid1(VALU_DEP_3)
	v_dual_cndmask_b32 v10, v11, v10, s0 :: v_dual_cndmask_b32 v11, v14, v12, vcc_lo
	v_bfe_u32 v12, v2, 29, 1
	s_delay_alu instid0(VALU_DEP_2) | instskip(NEXT) | instid1(VALU_DEP_3)
	v_cndmask_b32_e64 v10, v17, v10, s1
	v_alignbit_b32 v14, v2, v11, 30
	s_delay_alu instid0(VALU_DEP_3) | instskip(NEXT) | instid1(VALU_DEP_3)
	v_sub_nc_u32_e32 v15, 0, v12
	v_alignbit_b32 v16, v13, v10, v16
	s_delay_alu instid0(VALU_DEP_1) | instskip(NEXT) | instid1(VALU_DEP_1)
	v_dual_cndmask_b32 v13, v16, v13, vcc_lo :: v_dual_bitop2_b32 v14, v14, v15 bitop3:0x14
	v_clz_i32_u32_e32 v16, v14
	s_delay_alu instid0(VALU_DEP_2) | instskip(SKIP_1) | instid1(VALU_DEP_3)
	v_alignbit_b32 v11, v11, v13, 30
	v_alignbit_b32 v10, v13, v10, 30
	v_min_u32_e32 v16, 32, v16
	s_delay_alu instid0(VALU_DEP_3) | instskip(NEXT) | instid1(VALU_DEP_3)
	v_xor_b32_e32 v11, v11, v15
	v_dual_lshrrev_b32 v15, 29, v2 :: v_dual_bitop2_b32 v10, v10, v15 bitop3:0x14
	s_delay_alu instid0(VALU_DEP_3) | instskip(NEXT) | instid1(VALU_DEP_1)
	v_dual_sub_nc_u32 v13, 31, v16 :: v_dual_lshlrev_b32 v17, 23, v16
	v_alignbit_b32 v14, v14, v11, v13
	s_delay_alu instid0(VALU_DEP_3) | instskip(NEXT) | instid1(VALU_DEP_4)
	v_alignbit_b32 v10, v11, v10, v13
	v_lshlrev_b32_e32 v11, 31, v15
	s_delay_alu instid0(VALU_DEP_2) | instskip(NEXT) | instid1(VALU_DEP_2)
	v_alignbit_b32 v13, v14, v10, 9
	v_dual_lshrrev_b32 v14, 9, v14 :: v_dual_bitop2_b32 v15, 0.5, v11 bitop3:0x54
	v_or_b32_e32 v11, 0x33000000, v11
	s_delay_alu instid0(VALU_DEP_3) | instskip(NEXT) | instid1(VALU_DEP_3)
	v_clz_i32_u32_e32 v18, v13
	v_sub_nc_u32_e32 v15, v15, v17
	s_delay_alu instid0(VALU_DEP_2) | instskip(NEXT) | instid1(VALU_DEP_1)
	v_min_u32_e32 v17, 32, v18
	v_add_lshl_u32 v16, v17, v16, 23
	s_delay_alu instid0(VALU_DEP_3) | instskip(SKIP_1) | instid1(VALU_DEP_2)
	v_or_b32_e32 v14, v14, v15
	v_not_b32_e32 v15, v17
	v_dual_mul_f32 v18, 0x3fc90fda, v14 :: v_dual_sub_nc_u32 v11, v11, v16
	s_delay_alu instid0(VALU_DEP_2) | instskip(NEXT) | instid1(VALU_DEP_2)
	v_alignbit_b32 v10, v13, v10, v15
	v_fma_f32 v13, 0x3fc90fda, v14, -v18
	s_delay_alu instid0(VALU_DEP_2) | instskip(NEXT) | instid1(VALU_DEP_2)
	v_lshrrev_b32_e32 v10, 9, v10
	v_fmac_f32_e32 v13, 0x33a22168, v14
	s_delay_alu instid0(VALU_DEP_2) | instskip(NEXT) | instid1(VALU_DEP_1)
	v_or_b32_e32 v10, v11, v10
	v_fmac_f32_e32 v13, 0x3fc90fda, v10
	v_lshrrev_b32_e32 v10, 30, v2
	s_delay_alu instid0(VALU_DEP_1)
	v_dual_add_nc_u32 v10, v12, v10 :: v_dual_add_f32 v2, v18, v13
.LBB8_6:                                ;   in Loop: Header=BB8_4 Depth=1
	s_and_not1_saveexec_b32 s0, s14
	s_cbranch_execz .LBB8_3
; %bb.7:                                ;   in Loop: Header=BB8_4 Depth=1
	v_mul_f32_e64 v2, 0x3f22f983, |v8|
	s_delay_alu instid0(VALU_DEP_1) | instskip(NEXT) | instid1(VALU_DEP_1)
	v_rndne_f32_e32 v10, v2
	v_fma_f32 v2, 0xbfc90fda, v10, |v8|
	s_delay_alu instid0(VALU_DEP_1) | instskip(NEXT) | instid1(VALU_DEP_1)
	v_fmac_f32_e32 v2, 0xb3a22168, v10
	v_fmac_f32_e32 v2, 0xa7c234c4, v10
	v_cvt_i32_f32_e32 v10, v10
	s_branch .LBB8_3
.LBB8_8:
	v_mov_b32_e32 v1, 0
	s_delay_alu instid0(VALU_DEP_1)
	v_mov_b32_e32 v0, v1
.LBB8_9:
	v_mad_u32 v2, v5, s8, v4
	s_wait_kmcnt 0x0
	global_store_b64 v2, v[0:1], s[6:7] scale_offset
.LBB8_10:
	s_endpgm
	.section	.rodata,"a",@progbits
	.p2align	6, 0x0
	.amdhsa_kernel _Z9DFT2D1gpuPfPN6thrust23THRUST_200600_302600_NS7complexIfEEii
		.amdhsa_group_segment_fixed_size 0
		.amdhsa_private_segment_fixed_size 0
		.amdhsa_kernarg_size 280
		.amdhsa_user_sgpr_count 2
		.amdhsa_user_sgpr_dispatch_ptr 0
		.amdhsa_user_sgpr_queue_ptr 0
		.amdhsa_user_sgpr_kernarg_segment_ptr 1
		.amdhsa_user_sgpr_dispatch_id 0
		.amdhsa_user_sgpr_kernarg_preload_length 0
		.amdhsa_user_sgpr_kernarg_preload_offset 0
		.amdhsa_user_sgpr_private_segment_size 0
		.amdhsa_wavefront_size32 1
		.amdhsa_uses_dynamic_stack 0
		.amdhsa_enable_private_segment 0
		.amdhsa_system_sgpr_workgroup_id_x 1
		.amdhsa_system_sgpr_workgroup_id_y 1
		.amdhsa_system_sgpr_workgroup_id_z 0
		.amdhsa_system_sgpr_workgroup_info 0
		.amdhsa_system_vgpr_workitem_id 1
		.amdhsa_next_free_vgpr 24
		.amdhsa_next_free_sgpr 15
		.amdhsa_named_barrier_count 0
		.amdhsa_reserve_vcc 1
		.amdhsa_float_round_mode_32 0
		.amdhsa_float_round_mode_16_64 0
		.amdhsa_float_denorm_mode_32 3
		.amdhsa_float_denorm_mode_16_64 3
		.amdhsa_fp16_overflow 0
		.amdhsa_memory_ordered 1
		.amdhsa_forward_progress 1
		.amdhsa_inst_pref_size 12
		.amdhsa_round_robin_scheduling 0
		.amdhsa_exception_fp_ieee_invalid_op 0
		.amdhsa_exception_fp_denorm_src 0
		.amdhsa_exception_fp_ieee_div_zero 0
		.amdhsa_exception_fp_ieee_overflow 0
		.amdhsa_exception_fp_ieee_underflow 0
		.amdhsa_exception_fp_ieee_inexact 0
		.amdhsa_exception_int_div_zero 0
	.end_amdhsa_kernel
	.text
.Lfunc_end8:
	.size	_Z9DFT2D1gpuPfPN6thrust23THRUST_200600_302600_NS7complexIfEEii, .Lfunc_end8-_Z9DFT2D1gpuPfPN6thrust23THRUST_200600_302600_NS7complexIfEEii
                                        ; -- End function
	.set _Z9DFT2D1gpuPfPN6thrust23THRUST_200600_302600_NS7complexIfEEii.num_vgpr, 24
	.set _Z9DFT2D1gpuPfPN6thrust23THRUST_200600_302600_NS7complexIfEEii.num_agpr, 0
	.set _Z9DFT2D1gpuPfPN6thrust23THRUST_200600_302600_NS7complexIfEEii.numbered_sgpr, 15
	.set _Z9DFT2D1gpuPfPN6thrust23THRUST_200600_302600_NS7complexIfEEii.num_named_barrier, 0
	.set _Z9DFT2D1gpuPfPN6thrust23THRUST_200600_302600_NS7complexIfEEii.private_seg_size, 0
	.set _Z9DFT2D1gpuPfPN6thrust23THRUST_200600_302600_NS7complexIfEEii.uses_vcc, 1
	.set _Z9DFT2D1gpuPfPN6thrust23THRUST_200600_302600_NS7complexIfEEii.uses_flat_scratch, 0
	.set _Z9DFT2D1gpuPfPN6thrust23THRUST_200600_302600_NS7complexIfEEii.has_dyn_sized_stack, 0
	.set _Z9DFT2D1gpuPfPN6thrust23THRUST_200600_302600_NS7complexIfEEii.has_recursion, 0
	.set _Z9DFT2D1gpuPfPN6thrust23THRUST_200600_302600_NS7complexIfEEii.has_indirect_call, 0
	.section	.AMDGPU.csdata,"",@progbits
; Kernel info:
; codeLenInByte = 1452
; TotalNumSgprs: 17
; NumVgprs: 24
; ScratchSize: 0
; MemoryBound: 0
; FloatMode: 240
; IeeeMode: 1
; LDSByteSize: 0 bytes/workgroup (compile time only)
; SGPRBlocks: 0
; VGPRBlocks: 1
; NumSGPRsForWavesPerEU: 17
; NumVGPRsForWavesPerEU: 24
; NamedBarCnt: 0
; Occupancy: 16
; WaveLimiterHint : 0
; COMPUTE_PGM_RSRC2:SCRATCH_EN: 0
; COMPUTE_PGM_RSRC2:USER_SGPR: 2
; COMPUTE_PGM_RSRC2:TRAP_HANDLER: 0
; COMPUTE_PGM_RSRC2:TGID_X_EN: 1
; COMPUTE_PGM_RSRC2:TGID_Y_EN: 1
; COMPUTE_PGM_RSRC2:TGID_Z_EN: 0
; COMPUTE_PGM_RSRC2:TIDIG_COMP_CNT: 1
	.text
	.protected	_Z9DFT2D2gpuPN6thrust23THRUST_200600_302600_NS7complexIfEES3_ii ; -- Begin function _Z9DFT2D2gpuPN6thrust23THRUST_200600_302600_NS7complexIfEES3_ii
	.globl	_Z9DFT2D2gpuPN6thrust23THRUST_200600_302600_NS7complexIfEES3_ii
	.p2align	8
	.type	_Z9DFT2D2gpuPN6thrust23THRUST_200600_302600_NS7complexIfEES3_ii,@function
_Z9DFT2D2gpuPN6thrust23THRUST_200600_302600_NS7complexIfEES3_ii: ; @_Z9DFT2D2gpuPN6thrust23THRUST_200600_302600_NS7complexIfEES3_ii
; %bb.0:
	s_clause 0x1
	s_load_b32 s2, s[0:1], 0x24
	s_load_b64 s[8:9], s[0:1], 0x10
	s_bfe_u32 s4, ttmp6, 0x4000c
	s_bfe_u32 s5, ttmp6, 0x40010
	s_add_co_i32 s4, s4, 1
	s_add_co_i32 s5, s5, 1
	s_and_b32 s3, ttmp6, 15
	s_bfe_u32 s6, ttmp6, 0x40004
	s_mul_i32 s4, ttmp9, s4
	s_mul_i32 s5, ttmp7, s5
	s_getreg_b32 s7, hwreg(HW_REG_IB_STS2, 6, 4)
	v_bfe_u32 v1, v0, 10, 10
	v_and_b32_e32 v0, 0x3ff, v0
	s_add_co_i32 s3, s3, s4
	s_add_co_i32 s6, s6, s5
	s_wait_kmcnt 0x0
	s_lshr_b32 s4, s2, 16
	s_and_b32 s2, s2, 0xffff
	s_cmp_eq_u32 s7, 0
	s_cselect_b32 s5, ttmp7, s6
	s_cselect_b32 s3, ttmp9, s3
	v_mad_u32 v4, s5, s4, v1
	v_mad_u32 v5, s3, s2, v0
	s_delay_alu instid0(VALU_DEP_2) | instskip(NEXT) | instid1(VALU_DEP_2)
	v_cmp_gt_i32_e32 vcc_lo, s8, v4
	v_cmp_gt_i32_e64 s2, s9, v5
	s_and_b32 s2, vcc_lo, s2
	s_delay_alu instid0(SALU_CYCLE_1)
	s_and_saveexec_b32 s3, s2
	s_cbranch_execz .LBB9_10
; %bb.1:
	s_load_b128 s[4:7], s[0:1], 0x0
	s_cmp_lt_i32 s9, 1
	s_cbranch_scc1 .LBB9_8
; %bb.2:
	v_cvt_f32_i32_e32 v0, v5
	s_wait_xcnt 0x0
	s_cvt_f32_i32 s0, s9
	s_mov_b32 s10, 0
	s_mov_b64 s[2:3], 0xfe5163ab
	s_mov_b32 s11, 0x7fffff
	v_div_scale_f32 v1, null, s0, s0, v0
	v_div_scale_f32 v6, vcc_lo, v0, s0, v0
	s_mov_b32 s12, 0xb94c1982
	v_rcp_f32_e32 v2, v1
	s_mov_b32 s13, 0x37d75334
	v_nop
	s_delay_alu instid0(TRANS32_DEP_1) | instskip(NEXT) | instid1(VALU_DEP_1)
	v_fma_f32 v3, -v1, v2, 1.0
	v_fmac_f32_e32 v2, v3, v2
	s_delay_alu instid0(VALU_DEP_1) | instskip(NEXT) | instid1(VALU_DEP_1)
	v_mul_f32_e32 v3, v6, v2
	v_fma_f32 v7, -v1, v3, v6
	s_delay_alu instid0(VALU_DEP_1) | instskip(NEXT) | instid1(VALU_DEP_1)
	v_fmac_f32_e32 v3, v7, v2
	v_fma_f32 v1, -v1, v3, v6
	v_mul_lo_u32 v6, v4, s9
	s_delay_alu instid0(VALU_DEP_2) | instskip(SKIP_1) | instid1(VALU_DEP_2)
	v_div_fmas_f32 v1, v1, v2, v3
	v_mov_b32_e32 v3, 0
	v_div_fixup_f32 v1, v1, s0, v0
	s_delay_alu instid0(VALU_DEP_1)
	v_dual_mov_b32 v0, v3 :: v_dual_mul_f32 v7, 0xc0c90fdb, v1
	v_mov_b32_e32 v1, v3
	s_branch .LBB9_4
.LBB9_3:                                ;   in Loop: Header=BB9_4 Depth=1
	s_or_b32 exec_lo, exec_lo, s0
	v_dual_add_nc_u32 v11, s10, v6 :: v_dual_bitop2_b32 v9, v9, v8 bitop3:0x14
	s_add_co_i32 s10, s10, 1
	s_delay_alu instid0(SALU_CYCLE_1) | instskip(SKIP_4) | instid1(VALU_DEP_1)
	s_cmp_eq_u32 s9, s10
	s_wait_kmcnt 0x0
	global_load_b64 v[12:13], v11, s[4:5] scale_offset
	s_wait_xcnt 0x0
	v_mul_f32_e32 v11, v2, v2
	v_fmaak_f32 v14, s12, v11, 0x3c0881c4
	s_delay_alu instid0(VALU_DEP_1) | instskip(NEXT) | instid1(VALU_DEP_1)
	v_fmaak_f32 v14, v11, v14, 0xbe2aaa9d
	v_dual_fmaak_f32 v15, s13, v11, 0xbab64f3b :: v_dual_mul_f32 v14, v11, v14
	s_delay_alu instid0(VALU_DEP_1) | instskip(NEXT) | instid1(VALU_DEP_1)
	v_dual_fmaak_f32 v15, v11, v15, 0x3d2aabf7 :: v_dual_fmac_f32 v2, v2, v14
	v_fmaak_f32 v15, v11, v15, 0xbf000004
	s_delay_alu instid0(VALU_DEP_2) | instskip(SKIP_1) | instid1(VALU_DEP_3)
	v_xor_b32_e32 v14, 0x80000000, v2
	v_dual_lshlrev_b32 v10, 30, v10 :: v_dual_bitop2_b32 v16, 1, v10 bitop3:0x40
	v_fma_f32 v11, v11, v15, 1.0
	s_delay_alu instid0(VALU_DEP_2) | instskip(NEXT) | instid1(VALU_DEP_3)
	v_cmp_eq_u32_e32 vcc_lo, 0, v16
	v_and_b32_e32 v15, 0x80000000, v10
	s_delay_alu instid0(VALU_DEP_3) | instskip(SKIP_1) | instid1(VALU_DEP_2)
	v_dual_cndmask_b32 v2, v11, v2 :: v_dual_cndmask_b32 v11, v14, v11
	v_cmp_class_f32_e64 vcc_lo, v8, 0x1f8
	v_xor3_b32 v9, v9, v2, v15
	s_delay_alu instid0(VALU_DEP_3) | instskip(NEXT) | instid1(VALU_DEP_2)
	v_bitop3_b32 v2, v11, v10, 0x80000000 bitop3:0x78
	v_cndmask_b32_e32 v8, 0x7fc00000, v9, vcc_lo
	s_delay_alu instid0(VALU_DEP_2) | instskip(SKIP_1) | instid1(VALU_DEP_2)
	v_cndmask_b32_e32 v2, 0x7fc00000, v2, vcc_lo
	s_wait_loadcnt 0x0
	v_pk_mul_f32 v[8:9], v[12:13], v[8:9] op_sel:[1,0] op_sel_hi:[0,0]
	s_delay_alu instid0(VALU_DEP_1) | instskip(SKIP_1) | instid1(VALU_DEP_2)
	v_pk_fma_f32 v[10:11], v[12:13], v[2:3], v[8:9] op_sel_hi:[1,0,1]
	v_pk_fma_f32 v[8:9], v[12:13], v[2:3], v[8:9] neg_lo:[0,0,1] neg_hi:[0,0,1]
	v_mov_b32_e32 v9, v11
	s_delay_alu instid0(VALU_DEP_1)
	v_pk_add_f32 v[0:1], v[0:1], v[8:9]
	s_cbranch_scc1 .LBB9_9
.LBB9_4:                                ; =>This Inner Loop Header: Depth=1
	s_cvt_f32_u32 s0, s10
                                        ; implicit-def: $vgpr10
                                        ; implicit-def: $vgpr2
	s_mov_b32 s1, exec_lo
	s_delay_alu instid0(SALU_CYCLE_2) | instskip(NEXT) | instid1(VALU_DEP_1)
	v_mul_f32_e32 v8, s0, v7
	v_and_b32_e32 v9, 0x7fffffff, v8
	v_cmpx_ngt_f32_e64 0x48000000, |v8|
	s_xor_b32 s14, exec_lo, s1
	s_cbranch_execz .LBB9_6
; %bb.5:                                ;   in Loop: Header=BB9_4 Depth=1
	s_delay_alu instid0(VALU_DEP_2) | instskip(SKIP_1) | instid1(VALU_DEP_2)
	v_and_or_b32 v2, v9, s11, 0x800000
	v_dual_mov_b32 v21, v3 :: v_dual_mov_b32 v23, v3
	v_mul_u64_e32 v[10:11], s[2:3], v[2:3]
	s_delay_alu instid0(VALU_DEP_1) | instskip(SKIP_1) | instid1(VALU_DEP_2)
	v_dual_mov_b32 v13, v3 :: v_dual_mov_b32 v12, v11
	v_lshrrev_b32_e32 v11, 23, v9
	v_mad_nc_u64_u32 v[12:13], 0x3c439041, v2, v[12:13]
	v_mov_b32_e32 v15, v3
	s_delay_alu instid0(VALU_DEP_3) | instskip(NEXT) | instid1(VALU_DEP_1)
	v_add_nc_u32_e32 v11, 0xffffff88, v11
	v_cmp_lt_u32_e32 vcc_lo, 63, v11
	s_delay_alu instid0(VALU_DEP_4) | instskip(SKIP_1) | instid1(VALU_DEP_2)
	v_mov_b32_e32 v14, v13
	v_cndmask_b32_e64 v13, 0, 0xffffffc0, vcc_lo
	v_mad_nc_u64_u32 v[14:15], 0xdb629599, v2, v[14:15]
	s_delay_alu instid0(VALU_DEP_2) | instskip(NEXT) | instid1(VALU_DEP_1)
	v_dual_mov_b32 v17, v3 :: v_dual_add_nc_u32 v11, v13, v11
	v_cmp_lt_u32_e64 s0, 31, v11
	s_delay_alu instid0(VALU_DEP_3) | instskip(NEXT) | instid1(VALU_DEP_2)
	v_mov_b32_e32 v16, v15
	v_cndmask_b32_e64 v13, 0, 0xffffffe0, s0
	v_cndmask_b32_e32 v10, v14, v10, vcc_lo
	s_delay_alu instid0(VALU_DEP_3) | instskip(NEXT) | instid1(VALU_DEP_1)
	v_mad_nc_u64_u32 v[16:17], 0xf534ddc0, v2, v[16:17]
	v_dual_mov_b32 v19, v3 :: v_dual_mov_b32 v18, v17
	s_delay_alu instid0(VALU_DEP_1) | instskip(NEXT) | instid1(VALU_DEP_1)
	v_mad_nc_u64_u32 v[18:19], 0xfc2757d1, v2, v[18:19]
	v_mov_b32_e32 v20, v19
	s_delay_alu instid0(VALU_DEP_1) | instskip(NEXT) | instid1(VALU_DEP_1)
	v_mad_nc_u64_u32 v[20:21], 0x4e441529, v2, v[20:21]
	v_mov_b32_e32 v22, v21
	s_delay_alu instid0(VALU_DEP_1) | instskip(NEXT) | instid1(VALU_DEP_3)
	v_mad_nc_u64_u32 v[22:23], 0xa2f9836e, v2, v[22:23]
	v_dual_cndmask_b32 v13, v20, v16 :: v_dual_add_nc_u32 v2, v13, v11
	s_delay_alu instid0(VALU_DEP_2) | instskip(NEXT) | instid1(VALU_DEP_2)
	v_cndmask_b32_e32 v15, v22, v18, vcc_lo
	v_cmp_lt_u32_e64 s1, 31, v2
	s_delay_alu instid0(VALU_DEP_4) | instskip(NEXT) | instid1(VALU_DEP_2)
	v_dual_cndmask_b32 v17, v23, v20 :: v_dual_cndmask_b32 v18, v18, v14
	v_cndmask_b32_e64 v11, 0, 0xffffffe0, s1
	s_delay_alu instid0(VALU_DEP_1) | instskip(NEXT) | instid1(VALU_DEP_3)
	v_dual_cndmask_b32 v11, v16, v12 :: v_dual_add_nc_u32 v2, v11, v2
	v_dual_cndmask_b32 v12, v15, v13, s0 :: v_dual_cndmask_b32 v15, v17, v15, s0
	s_delay_alu instid0(VALU_DEP_4) | instskip(NEXT) | instid1(VALU_DEP_3)
	v_cndmask_b32_e64 v13, v13, v18, s0
	v_dual_sub_nc_u32 v16, 32, v2 :: v_dual_cndmask_b32 v17, v18, v11, s0
	v_cmp_eq_u32_e32 vcc_lo, 0, v2
	s_delay_alu instid0(VALU_DEP_3) | instskip(NEXT) | instid1(VALU_DEP_1)
	v_dual_cndmask_b32 v15, v15, v12, s1 :: v_dual_cndmask_b32 v12, v12, v13, s1
	v_alignbit_b32 v18, v15, v12, v16
	s_delay_alu instid0(VALU_DEP_1) | instskip(NEXT) | instid1(VALU_DEP_1)
	v_dual_cndmask_b32 v13, v13, v17, s1 :: v_dual_cndmask_b32 v2, v18, v15, vcc_lo
	v_alignbit_b32 v14, v12, v13, v16
	s_delay_alu instid0(VALU_DEP_1) | instskip(NEXT) | instid1(VALU_DEP_3)
	v_dual_cndmask_b32 v10, v11, v10, s0 :: v_dual_cndmask_b32 v11, v14, v12, vcc_lo
	v_bfe_u32 v12, v2, 29, 1
	s_delay_alu instid0(VALU_DEP_2) | instskip(NEXT) | instid1(VALU_DEP_3)
	v_cndmask_b32_e64 v10, v17, v10, s1
	v_alignbit_b32 v14, v2, v11, 30
	s_delay_alu instid0(VALU_DEP_3) | instskip(NEXT) | instid1(VALU_DEP_3)
	v_sub_nc_u32_e32 v15, 0, v12
	v_alignbit_b32 v16, v13, v10, v16
	s_delay_alu instid0(VALU_DEP_1) | instskip(NEXT) | instid1(VALU_DEP_1)
	v_dual_cndmask_b32 v13, v16, v13, vcc_lo :: v_dual_bitop2_b32 v14, v14, v15 bitop3:0x14
	v_clz_i32_u32_e32 v16, v14
	s_delay_alu instid0(VALU_DEP_2) | instskip(SKIP_1) | instid1(VALU_DEP_3)
	v_alignbit_b32 v11, v11, v13, 30
	v_alignbit_b32 v10, v13, v10, 30
	v_min_u32_e32 v16, 32, v16
	s_delay_alu instid0(VALU_DEP_3) | instskip(NEXT) | instid1(VALU_DEP_3)
	v_xor_b32_e32 v11, v11, v15
	v_dual_lshrrev_b32 v15, 29, v2 :: v_dual_bitop2_b32 v10, v10, v15 bitop3:0x14
	s_delay_alu instid0(VALU_DEP_3) | instskip(NEXT) | instid1(VALU_DEP_1)
	v_dual_sub_nc_u32 v13, 31, v16 :: v_dual_lshlrev_b32 v17, 23, v16
	v_alignbit_b32 v14, v14, v11, v13
	s_delay_alu instid0(VALU_DEP_3) | instskip(NEXT) | instid1(VALU_DEP_4)
	v_alignbit_b32 v10, v11, v10, v13
	v_lshlrev_b32_e32 v11, 31, v15
	s_delay_alu instid0(VALU_DEP_2) | instskip(NEXT) | instid1(VALU_DEP_2)
	v_alignbit_b32 v13, v14, v10, 9
	v_dual_lshrrev_b32 v14, 9, v14 :: v_dual_bitop2_b32 v15, 0.5, v11 bitop3:0x54
	v_or_b32_e32 v11, 0x33000000, v11
	s_delay_alu instid0(VALU_DEP_3) | instskip(NEXT) | instid1(VALU_DEP_3)
	v_clz_i32_u32_e32 v18, v13
	v_sub_nc_u32_e32 v15, v15, v17
	s_delay_alu instid0(VALU_DEP_2) | instskip(NEXT) | instid1(VALU_DEP_1)
	v_min_u32_e32 v17, 32, v18
	v_add_lshl_u32 v16, v17, v16, 23
	s_delay_alu instid0(VALU_DEP_3) | instskip(SKIP_1) | instid1(VALU_DEP_2)
	v_or_b32_e32 v14, v14, v15
	v_not_b32_e32 v15, v17
	v_dual_mul_f32 v18, 0x3fc90fda, v14 :: v_dual_sub_nc_u32 v11, v11, v16
	s_delay_alu instid0(VALU_DEP_2) | instskip(NEXT) | instid1(VALU_DEP_2)
	v_alignbit_b32 v10, v13, v10, v15
	v_fma_f32 v13, 0x3fc90fda, v14, -v18
	s_delay_alu instid0(VALU_DEP_2) | instskip(NEXT) | instid1(VALU_DEP_2)
	v_lshrrev_b32_e32 v10, 9, v10
	v_fmac_f32_e32 v13, 0x33a22168, v14
	s_delay_alu instid0(VALU_DEP_2) | instskip(NEXT) | instid1(VALU_DEP_1)
	v_or_b32_e32 v10, v11, v10
	v_fmac_f32_e32 v13, 0x3fc90fda, v10
	v_lshrrev_b32_e32 v10, 30, v2
	s_delay_alu instid0(VALU_DEP_1)
	v_dual_add_nc_u32 v10, v12, v10 :: v_dual_add_f32 v2, v18, v13
.LBB9_6:                                ;   in Loop: Header=BB9_4 Depth=1
	s_and_not1_saveexec_b32 s0, s14
	s_cbranch_execz .LBB9_3
; %bb.7:                                ;   in Loop: Header=BB9_4 Depth=1
	v_mul_f32_e64 v2, 0x3f22f983, |v8|
	s_delay_alu instid0(VALU_DEP_1) | instskip(NEXT) | instid1(VALU_DEP_1)
	v_rndne_f32_e32 v10, v2
	v_fma_f32 v2, 0xbfc90fda, v10, |v8|
	s_delay_alu instid0(VALU_DEP_1) | instskip(NEXT) | instid1(VALU_DEP_1)
	v_fmac_f32_e32 v2, 0xb3a22168, v10
	v_fmac_f32_e32 v2, 0xa7c234c4, v10
	v_cvt_i32_f32_e32 v10, v10
	s_branch .LBB9_3
.LBB9_8:
	v_mov_b32_e32 v1, 0
	s_delay_alu instid0(VALU_DEP_1)
	v_mov_b32_e32 v0, v1
.LBB9_9:
	v_mad_u32 v2, v5, s8, v4
	s_wait_kmcnt 0x0
	global_store_b64 v2, v[0:1], s[6:7] scale_offset
.LBB9_10:
	s_endpgm
	.section	.rodata,"a",@progbits
	.p2align	6, 0x0
	.amdhsa_kernel _Z9DFT2D2gpuPN6thrust23THRUST_200600_302600_NS7complexIfEES3_ii
		.amdhsa_group_segment_fixed_size 0
		.amdhsa_private_segment_fixed_size 0
		.amdhsa_kernarg_size 280
		.amdhsa_user_sgpr_count 2
		.amdhsa_user_sgpr_dispatch_ptr 0
		.amdhsa_user_sgpr_queue_ptr 0
		.amdhsa_user_sgpr_kernarg_segment_ptr 1
		.amdhsa_user_sgpr_dispatch_id 0
		.amdhsa_user_sgpr_kernarg_preload_length 0
		.amdhsa_user_sgpr_kernarg_preload_offset 0
		.amdhsa_user_sgpr_private_segment_size 0
		.amdhsa_wavefront_size32 1
		.amdhsa_uses_dynamic_stack 0
		.amdhsa_enable_private_segment 0
		.amdhsa_system_sgpr_workgroup_id_x 1
		.amdhsa_system_sgpr_workgroup_id_y 1
		.amdhsa_system_sgpr_workgroup_id_z 0
		.amdhsa_system_sgpr_workgroup_info 0
		.amdhsa_system_vgpr_workitem_id 1
		.amdhsa_next_free_vgpr 24
		.amdhsa_next_free_sgpr 15
		.amdhsa_named_barrier_count 0
		.amdhsa_reserve_vcc 1
		.amdhsa_float_round_mode_32 0
		.amdhsa_float_round_mode_16_64 0
		.amdhsa_float_denorm_mode_32 3
		.amdhsa_float_denorm_mode_16_64 3
		.amdhsa_fp16_overflow 0
		.amdhsa_memory_ordered 1
		.amdhsa_forward_progress 1
		.amdhsa_inst_pref_size 12
		.amdhsa_round_robin_scheduling 0
		.amdhsa_exception_fp_ieee_invalid_op 0
		.amdhsa_exception_fp_denorm_src 0
		.amdhsa_exception_fp_ieee_div_zero 0
		.amdhsa_exception_fp_ieee_overflow 0
		.amdhsa_exception_fp_ieee_underflow 0
		.amdhsa_exception_fp_ieee_inexact 0
		.amdhsa_exception_int_div_zero 0
	.end_amdhsa_kernel
	.text
.Lfunc_end9:
	.size	_Z9DFT2D2gpuPN6thrust23THRUST_200600_302600_NS7complexIfEES3_ii, .Lfunc_end9-_Z9DFT2D2gpuPN6thrust23THRUST_200600_302600_NS7complexIfEES3_ii
                                        ; -- End function
	.set _Z9DFT2D2gpuPN6thrust23THRUST_200600_302600_NS7complexIfEES3_ii.num_vgpr, 24
	.set _Z9DFT2D2gpuPN6thrust23THRUST_200600_302600_NS7complexIfEES3_ii.num_agpr, 0
	.set _Z9DFT2D2gpuPN6thrust23THRUST_200600_302600_NS7complexIfEES3_ii.numbered_sgpr, 15
	.set _Z9DFT2D2gpuPN6thrust23THRUST_200600_302600_NS7complexIfEES3_ii.num_named_barrier, 0
	.set _Z9DFT2D2gpuPN6thrust23THRUST_200600_302600_NS7complexIfEES3_ii.private_seg_size, 0
	.set _Z9DFT2D2gpuPN6thrust23THRUST_200600_302600_NS7complexIfEES3_ii.uses_vcc, 1
	.set _Z9DFT2D2gpuPN6thrust23THRUST_200600_302600_NS7complexIfEES3_ii.uses_flat_scratch, 0
	.set _Z9DFT2D2gpuPN6thrust23THRUST_200600_302600_NS7complexIfEES3_ii.has_dyn_sized_stack, 0
	.set _Z9DFT2D2gpuPN6thrust23THRUST_200600_302600_NS7complexIfEES3_ii.has_recursion, 0
	.set _Z9DFT2D2gpuPN6thrust23THRUST_200600_302600_NS7complexIfEES3_ii.has_indirect_call, 0
	.section	.AMDGPU.csdata,"",@progbits
; Kernel info:
; codeLenInByte = 1500
; TotalNumSgprs: 17
; NumVgprs: 24
; ScratchSize: 0
; MemoryBound: 0
; FloatMode: 240
; IeeeMode: 1
; LDSByteSize: 0 bytes/workgroup (compile time only)
; SGPRBlocks: 0
; VGPRBlocks: 1
; NumSGPRsForWavesPerEU: 17
; NumVGPRsForWavesPerEU: 24
; NamedBarCnt: 0
; Occupancy: 16
; WaveLimiterHint : 0
; COMPUTE_PGM_RSRC2:SCRATCH_EN: 0
; COMPUTE_PGM_RSRC2:USER_SGPR: 2
; COMPUTE_PGM_RSRC2:TRAP_HANDLER: 0
; COMPUTE_PGM_RSRC2:TGID_X_EN: 1
; COMPUTE_PGM_RSRC2:TGID_Y_EN: 1
; COMPUTE_PGM_RSRC2:TGID_Z_EN: 0
; COMPUTE_PGM_RSRC2:TIDIG_COMP_CNT: 1
	.text
	.protected	_Z10iDFT2D1gpuPN6thrust23THRUST_200600_302600_NS7complexIfEES3_ii ; -- Begin function _Z10iDFT2D1gpuPN6thrust23THRUST_200600_302600_NS7complexIfEES3_ii
	.globl	_Z10iDFT2D1gpuPN6thrust23THRUST_200600_302600_NS7complexIfEES3_ii
	.p2align	8
	.type	_Z10iDFT2D1gpuPN6thrust23THRUST_200600_302600_NS7complexIfEES3_ii,@function
_Z10iDFT2D1gpuPN6thrust23THRUST_200600_302600_NS7complexIfEES3_ii: ; @_Z10iDFT2D1gpuPN6thrust23THRUST_200600_302600_NS7complexIfEES3_ii
; %bb.0:
	s_clause 0x1
	s_load_b32 s2, s[0:1], 0x24
	s_load_b64 s[8:9], s[0:1], 0x10
	s_bfe_u32 s4, ttmp6, 0x4000c
	s_bfe_u32 s5, ttmp6, 0x40010
	s_add_co_i32 s4, s4, 1
	s_add_co_i32 s5, s5, 1
	s_and_b32 s3, ttmp6, 15
	s_bfe_u32 s6, ttmp6, 0x40004
	s_mul_i32 s4, ttmp9, s4
	s_mul_i32 s5, ttmp7, s5
	s_getreg_b32 s7, hwreg(HW_REG_IB_STS2, 6, 4)
	v_bfe_u32 v1, v0, 10, 10
	v_and_b32_e32 v0, 0x3ff, v0
	s_add_co_i32 s3, s3, s4
	s_add_co_i32 s6, s6, s5
	s_wait_kmcnt 0x0
	s_lshr_b32 s4, s2, 16
	s_and_b32 s2, s2, 0xffff
	s_cmp_eq_u32 s7, 0
	s_cselect_b32 s5, ttmp7, s6
	s_cselect_b32 s3, ttmp9, s3
	v_mad_u32 v4, s5, s4, v1
	v_mad_u32 v5, s3, s2, v0
	s_delay_alu instid0(VALU_DEP_2) | instskip(NEXT) | instid1(VALU_DEP_2)
	v_cmp_gt_i32_e32 vcc_lo, s8, v4
	v_cmp_gt_i32_e64 s2, s9, v5
	s_and_b32 s2, vcc_lo, s2
	s_delay_alu instid0(SALU_CYCLE_1)
	s_and_saveexec_b32 s3, s2
	s_cbranch_execz .LBB10_17
; %bb.1:
	v_cvt_f32_i32_e32 v0, v5
	s_cvt_f32_i32 s2, s9
	s_load_b128 s[4:7], s[0:1], 0x0
	s_wait_xcnt 0x0
	s_lshr_b32 s0, s9, 31
	s_delay_alu instid0(SALU_CYCLE_1)
	s_add_co_i32 s0, s9, s0
	v_div_scale_f32 v1, null, s2, s2, v0
	v_div_scale_f32 v6, vcc_lo, v0, s2, v0
	s_ashr_i32 s12, s0, 1
	v_rcp_f32_e32 v2, v1
	s_add_co_i32 s14, s12, 1
	s_cmp_lt_i32 s9, -1
	v_nop
	s_delay_alu instid0(TRANS32_DEP_1) | instskip(NEXT) | instid1(VALU_DEP_1)
	v_fma_f32 v3, -v1, v2, 1.0
	v_fmac_f32_e32 v2, v3, v2
	s_delay_alu instid0(VALU_DEP_1) | instskip(NEXT) | instid1(VALU_DEP_1)
	v_mul_f32_e32 v3, v6, v2
	v_fma_f32 v7, -v1, v3, v6
	s_delay_alu instid0(VALU_DEP_1) | instskip(NEXT) | instid1(VALU_DEP_1)
	v_fmac_f32_e32 v3, v7, v2
	v_fma_f32 v1, -v1, v3, v6
	s_delay_alu instid0(VALU_DEP_1) | instskip(NEXT) | instid1(VALU_DEP_1)
	v_div_fmas_f32 v1, v1, v2, v3
	v_div_fixup_f32 v0, v1, s2, v0
	s_delay_alu instid0(VALU_DEP_1)
	v_mul_f32_e32 v6, 0x40c90fdb, v0
	s_cbranch_scc1 .LBB10_8
; %bb.2:
	v_mul_lo_u32 v7, v4, s14
	v_mov_b32_e32 v3, 0
	s_mov_b32 s10, 0
	s_mov_b64 s[2:3], 0xfe5163ab
	s_mov_b32 s11, 0x7fffff
	s_mov_b32 s13, 0xb94c1982
	v_dual_mov_b32 v0, v3 :: v_dual_mov_b32 v1, v3
	s_mov_b32 s15, 0x37d75334
	s_branch .LBB10_4
.LBB10_3:                               ;   in Loop: Header=BB10_4 Depth=1
	s_or_b32 exec_lo, exec_lo, s0
	s_delay_alu instid0(VALU_DEP_1)
	v_dual_add_nc_u32 v11, s10, v7 :: v_dual_bitop2_b32 v16, 1, v10 bitop3:0x40
	s_add_co_i32 s10, s10, 1
	v_xor_b32_e32 v9, v9, v8
	s_cmp_eq_u32 s14, s10
	s_wait_kmcnt 0x0
	global_load_b64 v[12:13], v11, s[4:5] scale_offset
	s_wait_xcnt 0x0
	v_mul_f32_e32 v11, v2, v2
	v_cmp_eq_u32_e32 vcc_lo, 0, v16
	v_lshlrev_b32_e32 v10, 30, v10
	s_delay_alu instid0(VALU_DEP_3) | instskip(NEXT) | instid1(VALU_DEP_1)
	v_fmaak_f32 v14, s13, v11, 0x3c0881c4
	v_fmaak_f32 v14, v11, v14, 0xbe2aaa9d
	s_delay_alu instid0(VALU_DEP_1) | instskip(NEXT) | instid1(VALU_DEP_1)
	v_dual_fmaak_f32 v15, s15, v11, 0xbab64f3b :: v_dual_mul_f32 v14, v11, v14
	v_dual_fmaak_f32 v15, v11, v15, 0x3d2aabf7 :: v_dual_fmac_f32 v2, v2, v14
	s_delay_alu instid0(VALU_DEP_1) | instskip(NEXT) | instid1(VALU_DEP_2)
	v_fmaak_f32 v15, v11, v15, 0xbf000004
	v_xor_b32_e32 v14, 0x80000000, v2
	s_delay_alu instid0(VALU_DEP_2) | instskip(SKIP_1) | instid1(VALU_DEP_2)
	v_fma_f32 v11, v11, v15, 1.0
	v_and_b32_e32 v15, 0x80000000, v10
	v_dual_cndmask_b32 v2, v11, v2 :: v_dual_cndmask_b32 v11, v14, v11
	v_cmp_class_f32_e64 vcc_lo, v8, 0x1f8
	s_delay_alu instid0(VALU_DEP_2) | instskip(NEXT) | instid1(VALU_DEP_3)
	v_xor3_b32 v9, v9, v2, v15
	v_bitop3_b32 v2, v11, v10, 0x80000000 bitop3:0x78
	s_delay_alu instid0(VALU_DEP_2) | instskip(NEXT) | instid1(VALU_DEP_2)
	v_cndmask_b32_e32 v8, 0x7fc00000, v9, vcc_lo
	v_cndmask_b32_e32 v2, 0x7fc00000, v2, vcc_lo
	s_wait_loadcnt 0x0
	s_delay_alu instid0(VALU_DEP_2) | instskip(NEXT) | instid1(VALU_DEP_1)
	v_pk_mul_f32 v[8:9], v[12:13], v[8:9] op_sel:[1,0] op_sel_hi:[0,0]
	v_pk_fma_f32 v[10:11], v[12:13], v[2:3], v[8:9] op_sel_hi:[1,0,1]
	v_pk_fma_f32 v[8:9], v[12:13], v[2:3], v[8:9] neg_lo:[0,0,1] neg_hi:[0,0,1]
	s_delay_alu instid0(VALU_DEP_2) | instskip(NEXT) | instid1(VALU_DEP_1)
	v_mov_b32_e32 v9, v11
	v_pk_add_f32 v[0:1], v[0:1], v[8:9]
	s_cbranch_scc1 .LBB10_9
.LBB10_4:                               ; =>This Inner Loop Header: Depth=1
	s_cvt_f32_u32 s0, s10
                                        ; implicit-def: $vgpr10
                                        ; implicit-def: $vgpr2
	s_mov_b32 s1, exec_lo
	s_delay_alu instid0(SALU_CYCLE_2) | instskip(NEXT) | instid1(VALU_DEP_1)
	v_mul_f32_e32 v8, s0, v6
	v_and_b32_e32 v9, 0x7fffffff, v8
	v_cmpx_ngt_f32_e64 0x48000000, |v8|
	s_xor_b32 s16, exec_lo, s1
	s_cbranch_execz .LBB10_6
; %bb.5:                                ;   in Loop: Header=BB10_4 Depth=1
	s_delay_alu instid0(VALU_DEP_2) | instskip(SKIP_1) | instid1(VALU_DEP_2)
	v_and_or_b32 v2, v9, s11, 0x800000
	v_dual_mov_b32 v21, v3 :: v_dual_mov_b32 v23, v3
	v_mul_u64_e32 v[10:11], s[2:3], v[2:3]
	s_delay_alu instid0(VALU_DEP_1) | instskip(SKIP_1) | instid1(VALU_DEP_2)
	v_dual_mov_b32 v13, v3 :: v_dual_mov_b32 v12, v11
	v_lshrrev_b32_e32 v11, 23, v9
	v_mad_nc_u64_u32 v[12:13], 0x3c439041, v2, v[12:13]
	v_mov_b32_e32 v15, v3
	s_delay_alu instid0(VALU_DEP_3) | instskip(NEXT) | instid1(VALU_DEP_1)
	v_add_nc_u32_e32 v11, 0xffffff88, v11
	v_cmp_lt_u32_e32 vcc_lo, 63, v11
	s_delay_alu instid0(VALU_DEP_4) | instskip(SKIP_1) | instid1(VALU_DEP_2)
	v_mov_b32_e32 v14, v13
	v_cndmask_b32_e64 v13, 0, 0xffffffc0, vcc_lo
	v_mad_nc_u64_u32 v[14:15], 0xdb629599, v2, v[14:15]
	s_delay_alu instid0(VALU_DEP_2) | instskip(NEXT) | instid1(VALU_DEP_1)
	v_dual_mov_b32 v17, v3 :: v_dual_add_nc_u32 v11, v13, v11
	v_cmp_lt_u32_e64 s0, 31, v11
	s_delay_alu instid0(VALU_DEP_3) | instskip(NEXT) | instid1(VALU_DEP_2)
	v_mov_b32_e32 v16, v15
	v_cndmask_b32_e64 v13, 0, 0xffffffe0, s0
	v_cndmask_b32_e32 v10, v14, v10, vcc_lo
	s_delay_alu instid0(VALU_DEP_3) | instskip(NEXT) | instid1(VALU_DEP_1)
	v_mad_nc_u64_u32 v[16:17], 0xf534ddc0, v2, v[16:17]
	v_dual_mov_b32 v19, v3 :: v_dual_mov_b32 v18, v17
	s_delay_alu instid0(VALU_DEP_1) | instskip(NEXT) | instid1(VALU_DEP_1)
	v_mad_nc_u64_u32 v[18:19], 0xfc2757d1, v2, v[18:19]
	v_mov_b32_e32 v20, v19
	s_delay_alu instid0(VALU_DEP_1) | instskip(NEXT) | instid1(VALU_DEP_1)
	v_mad_nc_u64_u32 v[20:21], 0x4e441529, v2, v[20:21]
	v_mov_b32_e32 v22, v21
	s_delay_alu instid0(VALU_DEP_1) | instskip(NEXT) | instid1(VALU_DEP_3)
	v_mad_nc_u64_u32 v[22:23], 0xa2f9836e, v2, v[22:23]
	v_dual_cndmask_b32 v13, v20, v16 :: v_dual_add_nc_u32 v2, v13, v11
	s_delay_alu instid0(VALU_DEP_2) | instskip(NEXT) | instid1(VALU_DEP_2)
	v_cndmask_b32_e32 v15, v22, v18, vcc_lo
	v_cmp_lt_u32_e64 s1, 31, v2
	s_delay_alu instid0(VALU_DEP_4) | instskip(NEXT) | instid1(VALU_DEP_2)
	v_dual_cndmask_b32 v17, v23, v20 :: v_dual_cndmask_b32 v18, v18, v14
	v_cndmask_b32_e64 v11, 0, 0xffffffe0, s1
	s_delay_alu instid0(VALU_DEP_1) | instskip(NEXT) | instid1(VALU_DEP_3)
	v_dual_cndmask_b32 v11, v16, v12 :: v_dual_add_nc_u32 v2, v11, v2
	v_dual_cndmask_b32 v12, v15, v13, s0 :: v_dual_cndmask_b32 v15, v17, v15, s0
	s_delay_alu instid0(VALU_DEP_4) | instskip(NEXT) | instid1(VALU_DEP_3)
	v_cndmask_b32_e64 v13, v13, v18, s0
	v_dual_sub_nc_u32 v16, 32, v2 :: v_dual_cndmask_b32 v17, v18, v11, s0
	v_cmp_eq_u32_e32 vcc_lo, 0, v2
	s_delay_alu instid0(VALU_DEP_3) | instskip(NEXT) | instid1(VALU_DEP_1)
	v_dual_cndmask_b32 v15, v15, v12, s1 :: v_dual_cndmask_b32 v12, v12, v13, s1
	v_alignbit_b32 v18, v15, v12, v16
	s_delay_alu instid0(VALU_DEP_1) | instskip(NEXT) | instid1(VALU_DEP_1)
	v_dual_cndmask_b32 v13, v13, v17, s1 :: v_dual_cndmask_b32 v2, v18, v15, vcc_lo
	v_alignbit_b32 v14, v12, v13, v16
	s_delay_alu instid0(VALU_DEP_1) | instskip(NEXT) | instid1(VALU_DEP_3)
	v_dual_cndmask_b32 v10, v11, v10, s0 :: v_dual_cndmask_b32 v11, v14, v12, vcc_lo
	v_bfe_u32 v12, v2, 29, 1
	s_delay_alu instid0(VALU_DEP_2) | instskip(NEXT) | instid1(VALU_DEP_3)
	v_cndmask_b32_e64 v10, v17, v10, s1
	v_alignbit_b32 v14, v2, v11, 30
	s_delay_alu instid0(VALU_DEP_3) | instskip(NEXT) | instid1(VALU_DEP_3)
	v_sub_nc_u32_e32 v15, 0, v12
	v_alignbit_b32 v16, v13, v10, v16
	s_delay_alu instid0(VALU_DEP_1) | instskip(NEXT) | instid1(VALU_DEP_1)
	v_dual_cndmask_b32 v13, v16, v13, vcc_lo :: v_dual_bitop2_b32 v14, v14, v15 bitop3:0x14
	v_clz_i32_u32_e32 v16, v14
	s_delay_alu instid0(VALU_DEP_2) | instskip(SKIP_1) | instid1(VALU_DEP_3)
	v_alignbit_b32 v11, v11, v13, 30
	v_alignbit_b32 v10, v13, v10, 30
	v_min_u32_e32 v16, 32, v16
	s_delay_alu instid0(VALU_DEP_3) | instskip(NEXT) | instid1(VALU_DEP_3)
	v_xor_b32_e32 v11, v11, v15
	v_dual_lshrrev_b32 v15, 29, v2 :: v_dual_bitop2_b32 v10, v10, v15 bitop3:0x14
	s_delay_alu instid0(VALU_DEP_3) | instskip(NEXT) | instid1(VALU_DEP_1)
	v_dual_sub_nc_u32 v13, 31, v16 :: v_dual_lshlrev_b32 v17, 23, v16
	v_alignbit_b32 v14, v14, v11, v13
	s_delay_alu instid0(VALU_DEP_3) | instskip(NEXT) | instid1(VALU_DEP_4)
	v_alignbit_b32 v10, v11, v10, v13
	v_lshlrev_b32_e32 v11, 31, v15
	s_delay_alu instid0(VALU_DEP_2) | instskip(NEXT) | instid1(VALU_DEP_2)
	v_alignbit_b32 v13, v14, v10, 9
	v_dual_lshrrev_b32 v14, 9, v14 :: v_dual_bitop2_b32 v15, 0.5, v11 bitop3:0x54
	v_or_b32_e32 v11, 0x33000000, v11
	s_delay_alu instid0(VALU_DEP_3) | instskip(NEXT) | instid1(VALU_DEP_3)
	v_clz_i32_u32_e32 v18, v13
	v_sub_nc_u32_e32 v15, v15, v17
	s_delay_alu instid0(VALU_DEP_2) | instskip(NEXT) | instid1(VALU_DEP_1)
	v_min_u32_e32 v17, 32, v18
	v_add_lshl_u32 v16, v17, v16, 23
	s_delay_alu instid0(VALU_DEP_3) | instskip(SKIP_1) | instid1(VALU_DEP_2)
	v_or_b32_e32 v14, v14, v15
	v_not_b32_e32 v15, v17
	v_dual_mul_f32 v18, 0x3fc90fda, v14 :: v_dual_sub_nc_u32 v11, v11, v16
	s_delay_alu instid0(VALU_DEP_2) | instskip(NEXT) | instid1(VALU_DEP_2)
	v_alignbit_b32 v10, v13, v10, v15
	v_fma_f32 v13, 0x3fc90fda, v14, -v18
	s_delay_alu instid0(VALU_DEP_2) | instskip(NEXT) | instid1(VALU_DEP_2)
	v_lshrrev_b32_e32 v10, 9, v10
	v_fmac_f32_e32 v13, 0x33a22168, v14
	s_delay_alu instid0(VALU_DEP_2) | instskip(NEXT) | instid1(VALU_DEP_1)
	v_or_b32_e32 v10, v11, v10
	v_fmac_f32_e32 v13, 0x3fc90fda, v10
	v_lshrrev_b32_e32 v10, 30, v2
	s_delay_alu instid0(VALU_DEP_1)
	v_dual_add_nc_u32 v10, v12, v10 :: v_dual_add_f32 v2, v18, v13
.LBB10_6:                               ;   in Loop: Header=BB10_4 Depth=1
	s_and_not1_saveexec_b32 s0, s16
	s_cbranch_execz .LBB10_3
; %bb.7:                                ;   in Loop: Header=BB10_4 Depth=1
	v_mul_f32_e64 v2, 0x3f22f983, |v8|
	s_delay_alu instid0(VALU_DEP_1) | instskip(NEXT) | instid1(VALU_DEP_1)
	v_rndne_f32_e32 v10, v2
	v_fma_f32 v2, 0xbfc90fda, v10, |v8|
	s_delay_alu instid0(VALU_DEP_1) | instskip(NEXT) | instid1(VALU_DEP_1)
	v_fmac_f32_e32 v2, 0xb3a22168, v10
	v_fmac_f32_e32 v2, 0xa7c234c4, v10
	v_cvt_i32_f32_e32 v10, v10
	s_branch .LBB10_3
.LBB10_8:
	v_mov_b64_e32 v[0:1], 0
.LBB10_9:
	s_cmp_ge_i32 s14, s9
	s_cbranch_scc1 .LBB10_16
; %bb.10:
	s_abs_i32 s0, s8
	s_abs_i32 s15, s9
	s_cvt_f32_u32 s1, s0
	s_sub_co_i32 s2, 0, s0
	s_mov_b32 s3, 0
	s_mov_b32 s17, 0x7fffff
	v_rcp_iflag_f32_e32 v2, s1
	s_mov_b32 s11, s3
	s_mov_b32 s18, 0xb94c1982
	;; [unrolled: 1-line block ×3, first 2 shown]
	v_nop
	s_delay_alu instid0(TRANS32_DEP_1) | instskip(SKIP_2) | instid1(VALU_DEP_1)
	v_readfirstlane_b32 s1, v2
	v_sub_nc_u32_e32 v2, s8, v4
	s_mul_f32 s1, s1, 0x4f7ffffe
	v_sub_nc_u32_e32 v3, 0, v2
	s_delay_alu instid0(SALU_CYCLE_2) | instskip(NEXT) | instid1(VALU_DEP_1)
	s_cvt_u32_f32 s1, s1
	v_max_i32_e32 v3, v2, v3
	s_delay_alu instid0(SALU_CYCLE_2) | instskip(NEXT) | instid1(SALU_CYCLE_1)
	s_mul_i32 s2, s2, s1
	s_mul_hi_u32 s2, s1, s2
	s_delay_alu instid0(SALU_CYCLE_1)
	s_add_co_i32 s1, s1, s2
	s_delay_alu instid0(VALU_DEP_1) | instid1(SALU_CYCLE_1)
	v_mul_hi_u32 v7, v3, s1
	s_cvt_f32_u32 s1, s15
	s_delay_alu instid0(VALU_DEP_1) | instskip(NEXT) | instid1(VALU_DEP_1)
	v_mul_lo_u32 v7, v7, s0
	v_dual_sub_nc_u32 v3, v3, v7 :: v_dual_ashrrev_i32 v2, 31, v2
	s_delay_alu instid0(VALU_DEP_1) | instskip(SKIP_1) | instid1(VALU_DEP_2)
	v_subrev_nc_u32_e32 v7, s0, v3
	v_cmp_le_u32_e32 vcc_lo, s0, v3
	v_cndmask_b32_e32 v3, v3, v7, vcc_lo
	v_rcp_iflag_f32_e32 v7, s1
	s_delay_alu instid0(VALU_DEP_1) | instskip(SKIP_1) | instid1(TRANS32_DEP_1)
	v_subrev_nc_u32_e32 v8, s0, v3
	v_cmp_le_u32_e32 vcc_lo, s0, v3
	v_readfirstlane_b32 s1, v7
	s_delay_alu instid0(VALU_DEP_3) | instskip(SKIP_2) | instid1(VALU_DEP_1)
	v_cndmask_b32_e32 v3, v3, v8, vcc_lo
	s_mul_f32 s0, s1, 0x4f7ffffe
	s_sub_co_i32 s1, 0, s15
	v_xor_b32_e32 v3, v3, v2
	s_delay_alu instid0(SALU_CYCLE_1) | instskip(NEXT) | instid1(VALU_DEP_1)
	s_cvt_u32_f32 s0, s0
	v_dual_mov_b32 v3, 0 :: v_dual_sub_nc_u32 v2, v3, v2
	s_delay_alu instid0(SALU_CYCLE_2) | instskip(NEXT) | instid1(SALU_CYCLE_1)
	s_mul_i32 s1, s1, s0
	s_mul_hi_u32 s1, s0, s1
	s_delay_alu instid0(VALU_DEP_1)
	v_mul_lo_u32 v7, v2, s14
	s_add_co_i32 s10, s0, s1
	s_not_b32 s0, s12
	s_mov_b64 s[12:13], 0xfe5163ab
	s_add_co_i32 s16, s0, s9
	s_branch .LBB10_12
.LBB10_11:                              ;   in Loop: Header=BB10_12 Depth=1
	s_or_b32 exec_lo, exec_lo, s0
	s_abs_i32 s2, s16
	s_delay_alu instid0(VALU_DEP_1)
	v_and_b32_e32 v16, 1, v10
	s_mul_u64 s[0:1], s[2:3], s[10:11]
	v_xor_b32_e32 v9, v9, v8
	s_mul_i32 s0, s1, s15
	s_ashr_i32 s1, s16, 31
	s_sub_co_i32 s0, s2, s0
	v_cmp_eq_u32_e32 vcc_lo, 0, v16
	s_sub_co_i32 s2, s0, s15
	s_cmp_ge_u32 s0, s15
	v_lshlrev_b32_e32 v10, 30, v10
	s_cselect_b32 s0, s2, s0
	s_delay_alu instid0(SALU_CYCLE_1)
	s_sub_co_i32 s2, s0, s15
	s_cmp_ge_u32 s0, s15
	s_cselect_b32 s0, s2, s0
	s_add_co_i32 s14, s14, 1
	s_xor_b32 s0, s0, s1
	s_add_co_i32 s16, s16, -1
	s_sub_co_i32 s0, s0, s1
	s_cmp_ge_i32 s14, s9
	v_add_nc_u32_e32 v11, s0, v7
	s_wait_kmcnt 0x0
	global_load_b64 v[12:13], v11, s[4:5] scale_offset
	s_wait_xcnt 0x0
	v_mul_f32_e32 v11, v2, v2
	s_delay_alu instid0(VALU_DEP_1) | instskip(NEXT) | instid1(VALU_DEP_1)
	v_fmaak_f32 v14, s18, v11, 0x3c0881c4
	v_fmaak_f32 v14, v11, v14, 0xbe2aaa9d
	s_delay_alu instid0(VALU_DEP_1) | instskip(NEXT) | instid1(VALU_DEP_1)
	v_dual_fmaak_f32 v15, s19, v11, 0xbab64f3b :: v_dual_mul_f32 v14, v11, v14
	v_dual_fmaak_f32 v15, v11, v15, 0x3d2aabf7 :: v_dual_fmac_f32 v2, v2, v14
	s_delay_alu instid0(VALU_DEP_1) | instskip(NEXT) | instid1(VALU_DEP_2)
	v_fmaak_f32 v15, v11, v15, 0xbf000004
	v_xor_b32_e32 v14, 0x80000000, v2
	s_delay_alu instid0(VALU_DEP_2) | instskip(NEXT) | instid1(VALU_DEP_1)
	v_fma_f32 v11, v11, v15, 1.0
	v_dual_cndmask_b32 v2, v11, v2 :: v_dual_cndmask_b32 v11, v14, v11
	v_and_b32_e32 v14, 0x80000000, v10
	v_cmp_class_f32_e64 vcc_lo, v8, 0x1f8
	s_delay_alu instid0(VALU_DEP_3) | instskip(NEXT) | instid1(VALU_DEP_3)
	v_bitop3_b32 v10, v11, v10, 0x80000000 bitop3:0x78
	v_xor3_b32 v9, v9, v2, v14
	s_delay_alu instid0(VALU_DEP_2) | instskip(NEXT) | instid1(VALU_DEP_2)
	v_cndmask_b32_e32 v2, 0x7fc00000, v10, vcc_lo
	v_cndmask_b32_e32 v8, 0x7fc00000, v9, vcc_lo
	s_wait_loadcnt 0x0
	s_delay_alu instid0(VALU_DEP_2) | instskip(NEXT) | instid1(VALU_DEP_1)
	v_pk_mul_f32 v[10:11], v[12:13], v[2:3] op_sel_hi:[1,0]
	v_pk_fma_f32 v[14:15], v[12:13], v[8:9], v[10:11] op_sel:[1,0,0] op_sel_hi:[0,0,1] neg_lo:[0,0,1] neg_hi:[0,0,1]
	v_pk_fma_f32 v[8:9], v[12:13], v[8:9], v[10:11] op_sel:[1,0,0] op_sel_hi:[0,1,1]
	s_delay_alu instid0(VALU_DEP_2) | instskip(NEXT) | instid1(VALU_DEP_1)
	v_mov_b32_e32 v9, v15
	v_pk_add_f32 v[0:1], v[0:1], v[8:9]
	s_cbranch_scc1 .LBB10_16
.LBB10_12:                              ; =>This Inner Loop Header: Depth=1
	s_cvt_f32_i32 s0, s14
                                        ; implicit-def: $vgpr10
                                        ; implicit-def: $vgpr2
	s_mov_b32 s1, exec_lo
	s_delay_alu instid0(SALU_CYCLE_2) | instskip(NEXT) | instid1(VALU_DEP_1)
	v_mul_f32_e32 v8, s0, v6
	v_and_b32_e32 v9, 0x7fffffff, v8
	v_cmpx_ngt_f32_e64 0x48000000, |v8|
	s_xor_b32 s2, exec_lo, s1
	s_cbranch_execz .LBB10_14
; %bb.13:                               ;   in Loop: Header=BB10_12 Depth=1
	s_delay_alu instid0(VALU_DEP_2) | instskip(SKIP_1) | instid1(VALU_DEP_2)
	v_and_or_b32 v2, v9, s17, 0x800000
	v_dual_mov_b32 v21, v3 :: v_dual_mov_b32 v23, v3
	v_mul_u64_e32 v[10:11], s[12:13], v[2:3]
	s_delay_alu instid0(VALU_DEP_1) | instskip(SKIP_1) | instid1(VALU_DEP_2)
	v_dual_mov_b32 v13, v3 :: v_dual_mov_b32 v12, v11
	v_lshrrev_b32_e32 v11, 23, v9
	v_mad_nc_u64_u32 v[12:13], 0x3c439041, v2, v[12:13]
	v_mov_b32_e32 v15, v3
	s_delay_alu instid0(VALU_DEP_3) | instskip(NEXT) | instid1(VALU_DEP_1)
	v_add_nc_u32_e32 v11, 0xffffff88, v11
	v_cmp_lt_u32_e32 vcc_lo, 63, v11
	s_delay_alu instid0(VALU_DEP_4) | instskip(SKIP_1) | instid1(VALU_DEP_2)
	v_mov_b32_e32 v14, v13
	v_cndmask_b32_e64 v13, 0, 0xffffffc0, vcc_lo
	v_mad_nc_u64_u32 v[14:15], 0xdb629599, v2, v[14:15]
	s_delay_alu instid0(VALU_DEP_2) | instskip(NEXT) | instid1(VALU_DEP_1)
	v_dual_mov_b32 v17, v3 :: v_dual_add_nc_u32 v11, v13, v11
	v_cmp_lt_u32_e64 s0, 31, v11
	s_delay_alu instid0(VALU_DEP_3) | instskip(NEXT) | instid1(VALU_DEP_2)
	v_mov_b32_e32 v16, v15
	v_cndmask_b32_e64 v13, 0, 0xffffffe0, s0
	v_cndmask_b32_e32 v10, v14, v10, vcc_lo
	s_delay_alu instid0(VALU_DEP_3) | instskip(NEXT) | instid1(VALU_DEP_1)
	v_mad_nc_u64_u32 v[16:17], 0xf534ddc0, v2, v[16:17]
	v_dual_mov_b32 v19, v3 :: v_dual_mov_b32 v18, v17
	s_delay_alu instid0(VALU_DEP_1) | instskip(NEXT) | instid1(VALU_DEP_1)
	v_mad_nc_u64_u32 v[18:19], 0xfc2757d1, v2, v[18:19]
	v_mov_b32_e32 v20, v19
	s_delay_alu instid0(VALU_DEP_1) | instskip(NEXT) | instid1(VALU_DEP_1)
	v_mad_nc_u64_u32 v[20:21], 0x4e441529, v2, v[20:21]
	v_mov_b32_e32 v22, v21
	s_delay_alu instid0(VALU_DEP_1) | instskip(NEXT) | instid1(VALU_DEP_3)
	v_mad_nc_u64_u32 v[22:23], 0xa2f9836e, v2, v[22:23]
	v_dual_cndmask_b32 v13, v20, v16 :: v_dual_add_nc_u32 v2, v13, v11
	s_delay_alu instid0(VALU_DEP_2) | instskip(NEXT) | instid1(VALU_DEP_2)
	v_cndmask_b32_e32 v15, v22, v18, vcc_lo
	v_cmp_lt_u32_e64 s1, 31, v2
	s_delay_alu instid0(VALU_DEP_4) | instskip(NEXT) | instid1(VALU_DEP_2)
	v_dual_cndmask_b32 v17, v23, v20 :: v_dual_cndmask_b32 v18, v18, v14
	v_cndmask_b32_e64 v11, 0, 0xffffffe0, s1
	s_delay_alu instid0(VALU_DEP_1) | instskip(NEXT) | instid1(VALU_DEP_3)
	v_dual_cndmask_b32 v11, v16, v12 :: v_dual_add_nc_u32 v2, v11, v2
	v_dual_cndmask_b32 v12, v15, v13, s0 :: v_dual_cndmask_b32 v15, v17, v15, s0
	s_delay_alu instid0(VALU_DEP_4) | instskip(NEXT) | instid1(VALU_DEP_3)
	v_cndmask_b32_e64 v13, v13, v18, s0
	v_dual_sub_nc_u32 v16, 32, v2 :: v_dual_cndmask_b32 v17, v18, v11, s0
	v_cmp_eq_u32_e32 vcc_lo, 0, v2
	s_delay_alu instid0(VALU_DEP_3) | instskip(NEXT) | instid1(VALU_DEP_1)
	v_dual_cndmask_b32 v15, v15, v12, s1 :: v_dual_cndmask_b32 v12, v12, v13, s1
	v_alignbit_b32 v18, v15, v12, v16
	s_delay_alu instid0(VALU_DEP_1) | instskip(NEXT) | instid1(VALU_DEP_1)
	v_dual_cndmask_b32 v13, v13, v17, s1 :: v_dual_cndmask_b32 v2, v18, v15, vcc_lo
	v_alignbit_b32 v14, v12, v13, v16
	s_delay_alu instid0(VALU_DEP_1) | instskip(NEXT) | instid1(VALU_DEP_3)
	v_dual_cndmask_b32 v10, v11, v10, s0 :: v_dual_cndmask_b32 v11, v14, v12, vcc_lo
	v_bfe_u32 v12, v2, 29, 1
	s_delay_alu instid0(VALU_DEP_2) | instskip(NEXT) | instid1(VALU_DEP_3)
	v_cndmask_b32_e64 v10, v17, v10, s1
	v_alignbit_b32 v14, v2, v11, 30
	s_delay_alu instid0(VALU_DEP_3) | instskip(NEXT) | instid1(VALU_DEP_3)
	v_sub_nc_u32_e32 v15, 0, v12
	v_alignbit_b32 v16, v13, v10, v16
	s_delay_alu instid0(VALU_DEP_1) | instskip(NEXT) | instid1(VALU_DEP_1)
	v_dual_cndmask_b32 v13, v16, v13, vcc_lo :: v_dual_bitop2_b32 v14, v14, v15 bitop3:0x14
	v_clz_i32_u32_e32 v16, v14
	s_delay_alu instid0(VALU_DEP_2) | instskip(SKIP_1) | instid1(VALU_DEP_3)
	v_alignbit_b32 v11, v11, v13, 30
	v_alignbit_b32 v10, v13, v10, 30
	v_min_u32_e32 v16, 32, v16
	s_delay_alu instid0(VALU_DEP_3) | instskip(NEXT) | instid1(VALU_DEP_3)
	v_xor_b32_e32 v11, v11, v15
	v_dual_lshrrev_b32 v15, 29, v2 :: v_dual_bitop2_b32 v10, v10, v15 bitop3:0x14
	s_delay_alu instid0(VALU_DEP_3) | instskip(NEXT) | instid1(VALU_DEP_1)
	v_dual_sub_nc_u32 v13, 31, v16 :: v_dual_lshlrev_b32 v17, 23, v16
	v_alignbit_b32 v14, v14, v11, v13
	s_delay_alu instid0(VALU_DEP_3) | instskip(NEXT) | instid1(VALU_DEP_4)
	v_alignbit_b32 v10, v11, v10, v13
	v_lshlrev_b32_e32 v11, 31, v15
	s_delay_alu instid0(VALU_DEP_2) | instskip(NEXT) | instid1(VALU_DEP_2)
	v_alignbit_b32 v13, v14, v10, 9
	v_dual_lshrrev_b32 v14, 9, v14 :: v_dual_bitop2_b32 v15, 0.5, v11 bitop3:0x54
	v_or_b32_e32 v11, 0x33000000, v11
	s_delay_alu instid0(VALU_DEP_3) | instskip(NEXT) | instid1(VALU_DEP_3)
	v_clz_i32_u32_e32 v18, v13
	v_sub_nc_u32_e32 v15, v15, v17
	s_delay_alu instid0(VALU_DEP_2) | instskip(NEXT) | instid1(VALU_DEP_1)
	v_min_u32_e32 v17, 32, v18
	v_add_lshl_u32 v16, v17, v16, 23
	s_delay_alu instid0(VALU_DEP_3) | instskip(SKIP_1) | instid1(VALU_DEP_2)
	v_or_b32_e32 v14, v14, v15
	v_not_b32_e32 v15, v17
	v_dual_mul_f32 v18, 0x3fc90fda, v14 :: v_dual_sub_nc_u32 v11, v11, v16
	s_delay_alu instid0(VALU_DEP_2) | instskip(NEXT) | instid1(VALU_DEP_2)
	v_alignbit_b32 v10, v13, v10, v15
	v_fma_f32 v13, 0x3fc90fda, v14, -v18
	s_delay_alu instid0(VALU_DEP_2) | instskip(NEXT) | instid1(VALU_DEP_2)
	v_lshrrev_b32_e32 v10, 9, v10
	v_fmac_f32_e32 v13, 0x33a22168, v14
	s_delay_alu instid0(VALU_DEP_2) | instskip(NEXT) | instid1(VALU_DEP_1)
	v_or_b32_e32 v10, v11, v10
	v_fmac_f32_e32 v13, 0x3fc90fda, v10
	v_lshrrev_b32_e32 v10, 30, v2
	s_delay_alu instid0(VALU_DEP_1)
	v_dual_add_nc_u32 v10, v12, v10 :: v_dual_add_f32 v2, v18, v13
.LBB10_14:                              ;   in Loop: Header=BB10_12 Depth=1
	s_and_not1_saveexec_b32 s0, s2
	s_cbranch_execz .LBB10_11
; %bb.15:                               ;   in Loop: Header=BB10_12 Depth=1
	v_mul_f32_e64 v2, 0x3f22f983, |v8|
	s_delay_alu instid0(VALU_DEP_1) | instskip(NEXT) | instid1(VALU_DEP_1)
	v_rndne_f32_e32 v10, v2
	v_fma_f32 v2, 0xbfc90fda, v10, |v8|
	s_delay_alu instid0(VALU_DEP_1) | instskip(NEXT) | instid1(VALU_DEP_1)
	v_fmac_f32_e32 v2, 0xb3a22168, v10
	v_fmac_f32_e32 v2, 0xa7c234c4, v10
	v_cvt_i32_f32_e32 v10, v10
	s_branch .LBB10_11
.LBB10_16:
	v_mad_u32 v2, v5, s8, v4
	s_wait_kmcnt 0x0
	global_store_b64 v2, v[0:1], s[6:7] scale_offset
.LBB10_17:
	s_endpgm
	.section	.rodata,"a",@progbits
	.p2align	6, 0x0
	.amdhsa_kernel _Z10iDFT2D1gpuPN6thrust23THRUST_200600_302600_NS7complexIfEES3_ii
		.amdhsa_group_segment_fixed_size 0
		.amdhsa_private_segment_fixed_size 0
		.amdhsa_kernarg_size 280
		.amdhsa_user_sgpr_count 2
		.amdhsa_user_sgpr_dispatch_ptr 0
		.amdhsa_user_sgpr_queue_ptr 0
		.amdhsa_user_sgpr_kernarg_segment_ptr 1
		.amdhsa_user_sgpr_dispatch_id 0
		.amdhsa_user_sgpr_kernarg_preload_length 0
		.amdhsa_user_sgpr_kernarg_preload_offset 0
		.amdhsa_user_sgpr_private_segment_size 0
		.amdhsa_wavefront_size32 1
		.amdhsa_uses_dynamic_stack 0
		.amdhsa_enable_private_segment 0
		.amdhsa_system_sgpr_workgroup_id_x 1
		.amdhsa_system_sgpr_workgroup_id_y 1
		.amdhsa_system_sgpr_workgroup_id_z 0
		.amdhsa_system_sgpr_workgroup_info 0
		.amdhsa_system_vgpr_workitem_id 1
		.amdhsa_next_free_vgpr 24
		.amdhsa_next_free_sgpr 20
		.amdhsa_named_barrier_count 0
		.amdhsa_reserve_vcc 1
		.amdhsa_float_round_mode_32 0
		.amdhsa_float_round_mode_16_64 0
		.amdhsa_float_denorm_mode_32 3
		.amdhsa_float_denorm_mode_16_64 3
		.amdhsa_fp16_overflow 0
		.amdhsa_memory_ordered 1
		.amdhsa_forward_progress 1
		.amdhsa_inst_pref_size 23
		.amdhsa_round_robin_scheduling 0
		.amdhsa_exception_fp_ieee_invalid_op 0
		.amdhsa_exception_fp_denorm_src 0
		.amdhsa_exception_fp_ieee_div_zero 0
		.amdhsa_exception_fp_ieee_overflow 0
		.amdhsa_exception_fp_ieee_underflow 0
		.amdhsa_exception_fp_ieee_inexact 0
		.amdhsa_exception_int_div_zero 0
	.end_amdhsa_kernel
	.text
.Lfunc_end10:
	.size	_Z10iDFT2D1gpuPN6thrust23THRUST_200600_302600_NS7complexIfEES3_ii, .Lfunc_end10-_Z10iDFT2D1gpuPN6thrust23THRUST_200600_302600_NS7complexIfEES3_ii
                                        ; -- End function
	.set _Z10iDFT2D1gpuPN6thrust23THRUST_200600_302600_NS7complexIfEES3_ii.num_vgpr, 24
	.set _Z10iDFT2D1gpuPN6thrust23THRUST_200600_302600_NS7complexIfEES3_ii.num_agpr, 0
	.set _Z10iDFT2D1gpuPN6thrust23THRUST_200600_302600_NS7complexIfEES3_ii.numbered_sgpr, 20
	.set _Z10iDFT2D1gpuPN6thrust23THRUST_200600_302600_NS7complexIfEES3_ii.num_named_barrier, 0
	.set _Z10iDFT2D1gpuPN6thrust23THRUST_200600_302600_NS7complexIfEES3_ii.private_seg_size, 0
	.set _Z10iDFT2D1gpuPN6thrust23THRUST_200600_302600_NS7complexIfEES3_ii.uses_vcc, 1
	.set _Z10iDFT2D1gpuPN6thrust23THRUST_200600_302600_NS7complexIfEES3_ii.uses_flat_scratch, 0
	.set _Z10iDFT2D1gpuPN6thrust23THRUST_200600_302600_NS7complexIfEES3_ii.has_dyn_sized_stack, 0
	.set _Z10iDFT2D1gpuPN6thrust23THRUST_200600_302600_NS7complexIfEES3_ii.has_recursion, 0
	.set _Z10iDFT2D1gpuPN6thrust23THRUST_200600_302600_NS7complexIfEES3_ii.has_indirect_call, 0
	.section	.AMDGPU.csdata,"",@progbits
; Kernel info:
; codeLenInByte = 2936
; TotalNumSgprs: 22
; NumVgprs: 24
; ScratchSize: 0
; MemoryBound: 0
; FloatMode: 240
; IeeeMode: 1
; LDSByteSize: 0 bytes/workgroup (compile time only)
; SGPRBlocks: 0
; VGPRBlocks: 1
; NumSGPRsForWavesPerEU: 22
; NumVGPRsForWavesPerEU: 24
; NamedBarCnt: 0
; Occupancy: 16
; WaveLimiterHint : 0
; COMPUTE_PGM_RSRC2:SCRATCH_EN: 0
; COMPUTE_PGM_RSRC2:USER_SGPR: 2
; COMPUTE_PGM_RSRC2:TRAP_HANDLER: 0
; COMPUTE_PGM_RSRC2:TGID_X_EN: 1
; COMPUTE_PGM_RSRC2:TGID_Y_EN: 1
; COMPUTE_PGM_RSRC2:TGID_Z_EN: 0
; COMPUTE_PGM_RSRC2:TIDIG_COMP_CNT: 1
	.text
	.protected	_Z10iDFT2D2gpuPN6thrust23THRUST_200600_302600_NS7complexIfEEPfii ; -- Begin function _Z10iDFT2D2gpuPN6thrust23THRUST_200600_302600_NS7complexIfEEPfii
	.globl	_Z10iDFT2D2gpuPN6thrust23THRUST_200600_302600_NS7complexIfEEPfii
	.p2align	8
	.type	_Z10iDFT2D2gpuPN6thrust23THRUST_200600_302600_NS7complexIfEEPfii,@function
_Z10iDFT2D2gpuPN6thrust23THRUST_200600_302600_NS7complexIfEEPfii: ; @_Z10iDFT2D2gpuPN6thrust23THRUST_200600_302600_NS7complexIfEEPfii
; %bb.0:
	s_clause 0x1
	s_load_b32 s2, s[0:1], 0x24
	s_load_b64 s[8:9], s[0:1], 0x10
	s_bfe_u32 s4, ttmp6, 0x4000c
	s_bfe_u32 s5, ttmp6, 0x40010
	s_add_co_i32 s4, s4, 1
	s_add_co_i32 s5, s5, 1
	s_and_b32 s3, ttmp6, 15
	s_bfe_u32 s6, ttmp6, 0x40004
	s_mul_i32 s4, ttmp9, s4
	s_mul_i32 s5, ttmp7, s5
	s_getreg_b32 s7, hwreg(HW_REG_IB_STS2, 6, 4)
	v_bfe_u32 v1, v0, 10, 10
	v_and_b32_e32 v0, 0x3ff, v0
	s_add_co_i32 s3, s3, s4
	s_add_co_i32 s6, s6, s5
	s_wait_kmcnt 0x0
	s_lshr_b32 s4, s2, 16
	s_and_b32 s2, s2, 0xffff
	s_cmp_eq_u32 s7, 0
	s_cselect_b32 s5, ttmp7, s6
	s_cselect_b32 s3, ttmp9, s3
	v_mad_u32 v2, s5, s4, v1
	v_mad_u32 v3, s3, s2, v0
	s_delay_alu instid0(VALU_DEP_2) | instskip(NEXT) | instid1(VALU_DEP_2)
	v_cmp_gt_i32_e32 vcc_lo, s8, v2
	v_cmp_gt_i32_e64 s2, s9, v3
	s_and_b32 s2, vcc_lo, s2
	s_delay_alu instid0(SALU_CYCLE_1)
	s_and_saveexec_b32 s3, s2
	s_cbranch_execz .LBB11_10
; %bb.1:
	s_load_b128 s[4:7], s[0:1], 0x0
	s_cmp_lt_i32 s9, 1
	s_cbranch_scc1 .LBB11_8
; %bb.2:
	v_cvt_f32_i32_e32 v0, v3
	s_wait_xcnt 0x0
	s_cvt_f32_i32 s0, s9
	s_mov_b32 s10, 0
	s_mov_b64 s[2:3], 0xfe5163ab
	s_mov_b32 s11, 0x7fffff
	v_div_scale_f32 v1, null, s0, s0, v0
	v_div_scale_f32 v6, vcc_lo, v0, s0, v0
	s_mov_b32 s12, 0xb94c1982
	v_rcp_f32_e32 v4, v1
	s_mov_b32 s13, 0x37d75334
	v_nop
	s_delay_alu instid0(TRANS32_DEP_1) | instskip(NEXT) | instid1(VALU_DEP_1)
	v_fma_f32 v5, -v1, v4, 1.0
	v_fmac_f32_e32 v4, v5, v4
	s_delay_alu instid0(VALU_DEP_1) | instskip(NEXT) | instid1(VALU_DEP_1)
	v_mul_f32_e32 v5, v6, v4
	v_fma_f32 v7, -v1, v5, v6
	s_delay_alu instid0(VALU_DEP_1) | instskip(NEXT) | instid1(VALU_DEP_1)
	v_fmac_f32_e32 v5, v7, v4
	v_fma_f32 v1, -v1, v5, v6
	s_delay_alu instid0(VALU_DEP_1) | instskip(SKIP_2) | instid1(VALU_DEP_3)
	v_div_fmas_f32 v1, v1, v4, v5
	v_mul_lo_u32 v5, v2, s9
	v_mov_b32_e32 v4, 0
	v_div_fixup_f32 v0, v1, s0, v0
	s_delay_alu instid0(VALU_DEP_1)
	v_dual_mov_b32 v1, 0 :: v_dual_mul_f32 v6, 0x40c90fdb, v0
	s_branch .LBB11_4
.LBB11_3:                               ;   in Loop: Header=BB11_4 Depth=1
	s_or_b32 exec_lo, exec_lo, s0
	s_delay_alu instid0(VALU_DEP_2) | instskip(NEXT) | instid1(VALU_DEP_2)
	v_dual_add_nc_u32 v10, s10, v5 :: v_dual_mul_f32 v12, v0, v0
	v_and_b32_e32 v15, 1, v9
	s_add_co_i32 s10, s10, 1
	v_lshlrev_b32_e32 v9, 30, v9
	s_wait_kmcnt 0x0
	global_load_b64 v[10:11], v10, s[4:5] scale_offset
	v_fmaak_f32 v13, s12, v12, 0x3c0881c4
	v_cmp_eq_u32_e32 vcc_lo, 0, v15
	v_xor_b32_e32 v8, v8, v7
	s_cmp_eq_u32 s9, s10
	s_delay_alu instid0(VALU_DEP_3) | instskip(NEXT) | instid1(VALU_DEP_1)
	v_fmaak_f32 v13, v12, v13, 0xbe2aaa9d
	v_dual_fmaak_f32 v14, s13, v12, 0xbab64f3b :: v_dual_mul_f32 v13, v12, v13
	s_delay_alu instid0(VALU_DEP_1) | instskip(NEXT) | instid1(VALU_DEP_2)
	v_fmaak_f32 v14, v12, v14, 0x3d2aabf7
	v_fmac_f32_e32 v0, v0, v13
	s_delay_alu instid0(VALU_DEP_2) | instskip(NEXT) | instid1(VALU_DEP_2)
	v_fmaak_f32 v14, v12, v14, 0xbf000004
	v_xor_b32_e32 v13, 0x80000000, v0
	s_delay_alu instid0(VALU_DEP_2) | instskip(SKIP_1) | instid1(VALU_DEP_2)
	v_fma_f32 v12, v12, v14, 1.0
	v_and_b32_e32 v14, 0x80000000, v9
	v_cndmask_b32_e32 v0, v12, v0, vcc_lo
	s_delay_alu instid0(VALU_DEP_4) | instskip(SKIP_1) | instid1(VALU_DEP_3)
	v_cndmask_b32_e32 v12, v13, v12, vcc_lo
	v_cmp_class_f32_e64 vcc_lo, v7, 0x1f8
	v_xor3_b32 v0, v8, v0, v14
	s_delay_alu instid0(VALU_DEP_3) | instskip(NEXT) | instid1(VALU_DEP_2)
	v_bitop3_b32 v8, v12, v9, 0x80000000 bitop3:0x78
	v_cndmask_b32_e32 v0, 0x7fc00000, v0, vcc_lo
	s_delay_alu instid0(VALU_DEP_2) | instskip(SKIP_1) | instid1(VALU_DEP_2)
	v_cndmask_b32_e32 v7, 0x7fc00000, v8, vcc_lo
	s_wait_loadcnt 0x0
	v_mul_f32_e32 v0, v11, v0
	s_delay_alu instid0(VALU_DEP_1) | instskip(NEXT) | instid1(VALU_DEP_1)
	v_fma_f32 v0, v10, v7, -v0
	v_add_f32_e32 v4, v4, v0
	s_cbranch_scc1 .LBB11_9
.LBB11_4:                               ; =>This Inner Loop Header: Depth=1
	s_cvt_f32_u32 s0, s10
                                        ; implicit-def: $vgpr9
                                        ; implicit-def: $vgpr0
	s_mov_b32 s1, exec_lo
	s_delay_alu instid0(VALU_DEP_1) | instid1(SALU_CYCLE_2)
	v_mul_f32_e32 v7, s0, v6
	s_delay_alu instid0(VALU_DEP_1)
	v_and_b32_e32 v8, 0x7fffffff, v7
	v_cmpx_ngt_f32_e64 0x48000000, |v7|
	s_xor_b32 s14, exec_lo, s1
	s_cbranch_execz .LBB11_6
; %bb.5:                                ;   in Loop: Header=BB11_4 Depth=1
	s_delay_alu instid0(VALU_DEP_2) | instskip(SKIP_2) | instid1(VALU_DEP_3)
	v_and_or_b32 v0, v8, s11, 0x800000
	v_dual_lshrrev_b32 v9, 23, v8 :: v_dual_mov_b32 v21, v1
	v_mov_b32_e32 v23, v1
	v_mul_u64_e32 v[10:11], s[2:3], v[0:1]
	v_mov_b32_e32 v13, v1
	s_delay_alu instid0(VALU_DEP_4) | instskip(NEXT) | instid1(VALU_DEP_1)
	v_add_nc_u32_e32 v9, 0xffffff88, v9
	v_cmp_lt_u32_e32 vcc_lo, 63, v9
	s_delay_alu instid0(VALU_DEP_4) | instskip(SKIP_1) | instid1(VALU_DEP_2)
	v_mov_b32_e32 v12, v11
	v_cndmask_b32_e64 v11, 0, 0xffffffc0, vcc_lo
	v_mad_nc_u64_u32 v[12:13], 0x3c439041, v0, v[12:13]
	s_delay_alu instid0(VALU_DEP_2) | instskip(NEXT) | instid1(VALU_DEP_1)
	v_dual_mov_b32 v15, v1 :: v_dual_add_nc_u32 v9, v11, v9
	v_cmp_lt_u32_e64 s0, 31, v9
	s_delay_alu instid0(VALU_DEP_3) | instskip(NEXT) | instid1(VALU_DEP_2)
	v_mov_b32_e32 v14, v13
	v_cndmask_b32_e64 v11, 0, 0xffffffe0, s0
	s_delay_alu instid0(VALU_DEP_2) | instskip(NEXT) | instid1(VALU_DEP_1)
	v_mad_nc_u64_u32 v[14:15], 0xdb629599, v0, v[14:15]
	v_dual_mov_b32 v17, v1 :: v_dual_mov_b32 v16, v15
	s_delay_alu instid0(VALU_DEP_2) | instskip(NEXT) | instid1(VALU_DEP_2)
	v_cndmask_b32_e32 v10, v14, v10, vcc_lo
	v_mad_nc_u64_u32 v[16:17], 0xf534ddc0, v0, v[16:17]
	s_delay_alu instid0(VALU_DEP_1) | instskip(NEXT) | instid1(VALU_DEP_1)
	v_dual_mov_b32 v19, v1 :: v_dual_mov_b32 v18, v17
	v_mad_nc_u64_u32 v[18:19], 0xfc2757d1, v0, v[18:19]
	s_delay_alu instid0(VALU_DEP_1) | instskip(NEXT) | instid1(VALU_DEP_1)
	v_dual_mov_b32 v20, v19 :: v_dual_cndmask_b32 v17, v18, v14
	v_mad_nc_u64_u32 v[20:21], 0x4e441529, v0, v[20:21]
	s_delay_alu instid0(VALU_DEP_1) | instskip(NEXT) | instid1(VALU_DEP_1)
	v_mov_b32_e32 v22, v21
	v_mad_nc_u64_u32 v[22:23], 0xa2f9836e, v0, v[22:23]
	s_delay_alu instid0(VALU_DEP_3) | instskip(NEXT) | instid1(VALU_DEP_1)
	v_dual_cndmask_b32 v11, v20, v16 :: v_dual_add_nc_u32 v0, v11, v9
	v_cmp_lt_u32_e64 s1, 31, v0
	s_delay_alu instid0(VALU_DEP_1) | instskip(NEXT) | instid1(VALU_DEP_4)
	v_cndmask_b32_e64 v9, 0, 0xffffffe0, s1
	v_dual_cndmask_b32 v13, v22, v18, vcc_lo :: v_dual_cndmask_b32 v15, v23, v20, vcc_lo
	s_delay_alu instid0(VALU_DEP_2) | instskip(NEXT) | instid1(VALU_DEP_2)
	v_add_nc_u32_e32 v0, v9, v0
	v_dual_cndmask_b32 v9, v16, v12, vcc_lo :: v_dual_cndmask_b32 v12, v13, v11, s0
	s_delay_alu instid0(VALU_DEP_3) | instskip(NEXT) | instid1(VALU_DEP_3)
	v_cndmask_b32_e64 v13, v15, v13, s0
	v_dual_cndmask_b32 v11, v11, v17, s0 :: v_dual_sub_nc_u32 v15, 32, v0
	s_delay_alu instid0(VALU_DEP_3) | instskip(SKIP_1) | instid1(VALU_DEP_3)
	v_cndmask_b32_e64 v16, v17, v9, s0
	v_cmp_eq_u32_e32 vcc_lo, 0, v0
	v_dual_cndmask_b32 v13, v13, v12, s1 :: v_dual_cndmask_b32 v12, v12, v11, s1
	s_delay_alu instid0(VALU_DEP_1) | instskip(NEXT) | instid1(VALU_DEP_1)
	v_alignbit_b32 v17, v13, v12, v15
	v_dual_cndmask_b32 v11, v11, v16, s1 :: v_dual_cndmask_b32 v0, v17, v13, vcc_lo
	s_delay_alu instid0(VALU_DEP_1) | instskip(NEXT) | instid1(VALU_DEP_1)
	v_alignbit_b32 v14, v12, v11, v15
	v_dual_cndmask_b32 v9, v9, v10, s0 :: v_dual_cndmask_b32 v10, v14, v12, vcc_lo
	s_delay_alu instid0(VALU_DEP_3) | instskip(NEXT) | instid1(VALU_DEP_2)
	v_bfe_u32 v12, v0, 29, 1
	v_cndmask_b32_e64 v9, v16, v9, s1
	s_delay_alu instid0(VALU_DEP_3) | instskip(NEXT) | instid1(VALU_DEP_3)
	v_alignbit_b32 v13, v0, v10, 30
	v_sub_nc_u32_e32 v14, 0, v12
	s_delay_alu instid0(VALU_DEP_3) | instskip(NEXT) | instid1(VALU_DEP_1)
	v_alignbit_b32 v15, v11, v9, v15
	v_dual_cndmask_b32 v11, v15, v11, vcc_lo :: v_dual_bitop2_b32 v13, v13, v14 bitop3:0x14
	s_delay_alu instid0(VALU_DEP_1) | instskip(NEXT) | instid1(VALU_DEP_2)
	v_clz_i32_u32_e32 v15, v13
	v_alignbit_b32 v10, v10, v11, 30
	v_alignbit_b32 v9, v11, v9, 30
	s_delay_alu instid0(VALU_DEP_3) | instskip(NEXT) | instid1(VALU_DEP_3)
	v_min_u32_e32 v15, 32, v15
	v_xor_b32_e32 v10, v10, v14
	s_delay_alu instid0(VALU_DEP_3) | instskip(NEXT) | instid1(VALU_DEP_3)
	v_dual_lshrrev_b32 v14, 29, v0 :: v_dual_bitop2_b32 v9, v9, v14 bitop3:0x14
	v_dual_sub_nc_u32 v11, 31, v15 :: v_dual_lshlrev_b32 v16, 23, v15
	s_delay_alu instid0(VALU_DEP_1) | instskip(NEXT) | instid1(VALU_DEP_3)
	v_alignbit_b32 v13, v13, v10, v11
	v_alignbit_b32 v9, v10, v9, v11
	s_delay_alu instid0(VALU_DEP_4) | instskip(NEXT) | instid1(VALU_DEP_2)
	v_lshlrev_b32_e32 v10, 31, v14
	v_alignbit_b32 v11, v13, v9, 9
	s_delay_alu instid0(VALU_DEP_2) | instskip(SKIP_1) | instid1(VALU_DEP_3)
	v_dual_lshrrev_b32 v13, 9, v13 :: v_dual_bitop2_b32 v14, 0.5, v10 bitop3:0x54
	v_or_b32_e32 v10, 0x33000000, v10
	v_clz_i32_u32_e32 v17, v11
	s_delay_alu instid0(VALU_DEP_3) | instskip(NEXT) | instid1(VALU_DEP_2)
	v_sub_nc_u32_e32 v14, v14, v16
	v_min_u32_e32 v16, 32, v17
	s_delay_alu instid0(VALU_DEP_1) | instskip(NEXT) | instid1(VALU_DEP_3)
	v_add_lshl_u32 v15, v16, v15, 23
	v_or_b32_e32 v13, v13, v14
	v_not_b32_e32 v14, v16
	s_delay_alu instid0(VALU_DEP_2) | instskip(NEXT) | instid1(VALU_DEP_2)
	v_dual_mul_f32 v17, 0x3fc90fda, v13 :: v_dual_sub_nc_u32 v10, v10, v15
	v_alignbit_b32 v9, v11, v9, v14
	s_delay_alu instid0(VALU_DEP_2) | instskip(NEXT) | instid1(VALU_DEP_2)
	v_fma_f32 v11, 0x3fc90fda, v13, -v17
	v_lshrrev_b32_e32 v9, 9, v9
	s_delay_alu instid0(VALU_DEP_2) | instskip(NEXT) | instid1(VALU_DEP_2)
	v_fmac_f32_e32 v11, 0x33a22168, v13
	v_or_b32_e32 v9, v10, v9
	s_delay_alu instid0(VALU_DEP_1) | instskip(NEXT) | instid1(VALU_DEP_1)
	v_fmac_f32_e32 v11, 0x3fc90fda, v9
	v_dual_add_f32 v0, v17, v11 :: v_dual_lshrrev_b32 v9, 30, v0
	s_delay_alu instid0(VALU_DEP_1)
	v_add_nc_u32_e32 v9, v12, v9
.LBB11_6:                               ;   in Loop: Header=BB11_4 Depth=1
	s_and_not1_saveexec_b32 s0, s14
	s_cbranch_execz .LBB11_3
; %bb.7:                                ;   in Loop: Header=BB11_4 Depth=1
	v_mul_f32_e64 v0, 0x3f22f983, |v7|
	s_delay_alu instid0(VALU_DEP_1) | instskip(NEXT) | instid1(VALU_DEP_1)
	v_rndne_f32_e32 v9, v0
	v_fma_f32 v0, 0xbfc90fda, v9, |v7|
	s_delay_alu instid0(VALU_DEP_1) | instskip(NEXT) | instid1(VALU_DEP_1)
	v_fmac_f32_e32 v0, 0xb3a22168, v9
	v_fmac_f32_e32 v0, 0xa7c234c4, v9
	v_cvt_i32_f32_e32 v9, v9
	s_branch .LBB11_3
.LBB11_8:
	v_mov_b32_e32 v4, 0
.LBB11_9:
	v_mad_u32 v0, v3, s8, v2
	s_wait_kmcnt 0x0
	global_store_b32 v0, v4, s[6:7] scale_offset
.LBB11_10:
	s_endpgm
	.section	.rodata,"a",@progbits
	.p2align	6, 0x0
	.amdhsa_kernel _Z10iDFT2D2gpuPN6thrust23THRUST_200600_302600_NS7complexIfEEPfii
		.amdhsa_group_segment_fixed_size 0
		.amdhsa_private_segment_fixed_size 0
		.amdhsa_kernarg_size 280
		.amdhsa_user_sgpr_count 2
		.amdhsa_user_sgpr_dispatch_ptr 0
		.amdhsa_user_sgpr_queue_ptr 0
		.amdhsa_user_sgpr_kernarg_segment_ptr 1
		.amdhsa_user_sgpr_dispatch_id 0
		.amdhsa_user_sgpr_kernarg_preload_length 0
		.amdhsa_user_sgpr_kernarg_preload_offset 0
		.amdhsa_user_sgpr_private_segment_size 0
		.amdhsa_wavefront_size32 1
		.amdhsa_uses_dynamic_stack 0
		.amdhsa_enable_private_segment 0
		.amdhsa_system_sgpr_workgroup_id_x 1
		.amdhsa_system_sgpr_workgroup_id_y 1
		.amdhsa_system_sgpr_workgroup_id_z 0
		.amdhsa_system_sgpr_workgroup_info 0
		.amdhsa_system_vgpr_workitem_id 1
		.amdhsa_next_free_vgpr 24
		.amdhsa_next_free_sgpr 15
		.amdhsa_named_barrier_count 0
		.amdhsa_reserve_vcc 1
		.amdhsa_float_round_mode_32 0
		.amdhsa_float_round_mode_16_64 0
		.amdhsa_float_denorm_mode_32 3
		.amdhsa_float_denorm_mode_16_64 3
		.amdhsa_fp16_overflow 0
		.amdhsa_memory_ordered 1
		.amdhsa_forward_progress 1
		.amdhsa_inst_pref_size 12
		.amdhsa_round_robin_scheduling 0
		.amdhsa_exception_fp_ieee_invalid_op 0
		.amdhsa_exception_fp_denorm_src 0
		.amdhsa_exception_fp_ieee_div_zero 0
		.amdhsa_exception_fp_ieee_overflow 0
		.amdhsa_exception_fp_ieee_underflow 0
		.amdhsa_exception_fp_ieee_inexact 0
		.amdhsa_exception_int_div_zero 0
	.end_amdhsa_kernel
	.text
.Lfunc_end11:
	.size	_Z10iDFT2D2gpuPN6thrust23THRUST_200600_302600_NS7complexIfEEPfii, .Lfunc_end11-_Z10iDFT2D2gpuPN6thrust23THRUST_200600_302600_NS7complexIfEEPfii
                                        ; -- End function
	.set _Z10iDFT2D2gpuPN6thrust23THRUST_200600_302600_NS7complexIfEEPfii.num_vgpr, 24
	.set _Z10iDFT2D2gpuPN6thrust23THRUST_200600_302600_NS7complexIfEEPfii.num_agpr, 0
	.set _Z10iDFT2D2gpuPN6thrust23THRUST_200600_302600_NS7complexIfEEPfii.numbered_sgpr, 15
	.set _Z10iDFT2D2gpuPN6thrust23THRUST_200600_302600_NS7complexIfEEPfii.num_named_barrier, 0
	.set _Z10iDFT2D2gpuPN6thrust23THRUST_200600_302600_NS7complexIfEEPfii.private_seg_size, 0
	.set _Z10iDFT2D2gpuPN6thrust23THRUST_200600_302600_NS7complexIfEEPfii.uses_vcc, 1
	.set _Z10iDFT2D2gpuPN6thrust23THRUST_200600_302600_NS7complexIfEEPfii.uses_flat_scratch, 0
	.set _Z10iDFT2D2gpuPN6thrust23THRUST_200600_302600_NS7complexIfEEPfii.has_dyn_sized_stack, 0
	.set _Z10iDFT2D2gpuPN6thrust23THRUST_200600_302600_NS7complexIfEEPfii.has_recursion, 0
	.set _Z10iDFT2D2gpuPN6thrust23THRUST_200600_302600_NS7complexIfEEPfii.has_indirect_call, 0
	.section	.AMDGPU.csdata,"",@progbits
; Kernel info:
; codeLenInByte = 1468
; TotalNumSgprs: 17
; NumVgprs: 24
; ScratchSize: 0
; MemoryBound: 0
; FloatMode: 240
; IeeeMode: 1
; LDSByteSize: 0 bytes/workgroup (compile time only)
; SGPRBlocks: 0
; VGPRBlocks: 1
; NumSGPRsForWavesPerEU: 17
; NumVGPRsForWavesPerEU: 24
; NamedBarCnt: 0
; Occupancy: 16
; WaveLimiterHint : 0
; COMPUTE_PGM_RSRC2:SCRATCH_EN: 0
; COMPUTE_PGM_RSRC2:USER_SGPR: 2
; COMPUTE_PGM_RSRC2:TRAP_HANDLER: 0
; COMPUTE_PGM_RSRC2:TGID_X_EN: 1
; COMPUTE_PGM_RSRC2:TGID_Y_EN: 1
; COMPUTE_PGM_RSRC2:TGID_Z_EN: 0
; COMPUTE_PGM_RSRC2:TIDIG_COMP_CNT: 1
	.text
	.p2alignl 7, 3214868480
	.fill 96, 4, 3214868480
	.section	.AMDGPU.gpr_maximums,"",@progbits
	.set amdgpu.max_num_vgpr, 0
	.set amdgpu.max_num_agpr, 0
	.set amdgpu.max_num_sgpr, 0
	.text
	.type	__hip_cuid_2993bad8f53585d,@object ; @__hip_cuid_2993bad8f53585d
	.section	.bss,"aw",@nobits
	.globl	__hip_cuid_2993bad8f53585d
__hip_cuid_2993bad8f53585d:
	.byte	0                               ; 0x0
	.size	__hip_cuid_2993bad8f53585d, 1

	.ident	"AMD clang version 22.0.0git (https://github.com/RadeonOpenCompute/llvm-project roc-7.2.4 26084 f58b06dce1f9c15707c5f808fd002e18c2accf7e)"
	.section	".note.GNU-stack","",@progbits
	.addrsig
	.addrsig_sym __hip_cuid_2993bad8f53585d
	.amdgpu_metadata
---
amdhsa.kernels:
  - .args:
      - .address_space:  global
        .offset:         0
        .size:           8
        .value_kind:     global_buffer
      - .address_space:  global
        .offset:         8
        .size:           8
        .value_kind:     global_buffer
      - .offset:         16
        .size:           4
        .value_kind:     by_value
      - .offset:         20
        .size:           4
        .value_kind:     by_value
      - .offset:         24
        .size:           4
        .value_kind:     by_value
      - .offset:         32
        .size:           4
        .value_kind:     hidden_block_count_x
      - .offset:         36
        .size:           4
        .value_kind:     hidden_block_count_y
      - .offset:         40
        .size:           4
        .value_kind:     hidden_block_count_z
      - .offset:         44
        .size:           2
        .value_kind:     hidden_group_size_x
      - .offset:         46
        .size:           2
        .value_kind:     hidden_group_size_y
      - .offset:         48
        .size:           2
        .value_kind:     hidden_group_size_z
      - .offset:         50
        .size:           2
        .value_kind:     hidden_remainder_x
      - .offset:         52
        .size:           2
        .value_kind:     hidden_remainder_y
      - .offset:         54
        .size:           2
        .value_kind:     hidden_remainder_z
      - .offset:         72
        .size:           8
        .value_kind:     hidden_global_offset_x
      - .offset:         80
        .size:           8
        .value_kind:     hidden_global_offset_y
      - .offset:         88
        .size:           8
        .value_kind:     hidden_global_offset_z
      - .offset:         96
        .size:           2
        .value_kind:     hidden_grid_dims
    .group_segment_fixed_size: 0
    .kernarg_segment_align: 8
    .kernarg_segment_size: 288
    .language:       OpenCL C
    .language_version:
      - 2
      - 0
    .max_flat_workgroup_size: 1024
    .name:           _Z17copy_to_fft_inputPVfPKfiii
    .private_segment_fixed_size: 0
    .sgpr_count:     11
    .sgpr_spill_count: 0
    .symbol:         _Z17copy_to_fft_inputPVfPKfiii.kd
    .uniform_work_group_size: 1
    .uses_dynamic_stack: false
    .vgpr_count:     7
    .vgpr_spill_count: 0
    .wavefront_size: 32
  - .args:
      - .address_space:  global
        .offset:         0
        .size:           8
        .value_kind:     global_buffer
      - .address_space:  global
        .offset:         8
        .size:           8
        .value_kind:     global_buffer
      - .offset:         16
        .size:           4
        .value_kind:     by_value
      - .offset:         20
        .size:           4
        .value_kind:     by_value
      - .offset:         24
        .size:           4
        .value_kind:     by_value
      - .offset:         32
        .size:           4
        .value_kind:     hidden_block_count_x
      - .offset:         36
        .size:           4
        .value_kind:     hidden_block_count_y
      - .offset:         40
        .size:           4
        .value_kind:     hidden_block_count_z
      - .offset:         44
        .size:           2
        .value_kind:     hidden_group_size_x
      - .offset:         46
        .size:           2
        .value_kind:     hidden_group_size_y
      - .offset:         48
        .size:           2
        .value_kind:     hidden_group_size_z
      - .offset:         50
        .size:           2
        .value_kind:     hidden_remainder_x
      - .offset:         52
        .size:           2
        .value_kind:     hidden_remainder_y
      - .offset:         54
        .size:           2
        .value_kind:     hidden_remainder_z
      - .offset:         72
        .size:           8
        .value_kind:     hidden_global_offset_x
      - .offset:         80
        .size:           8
        .value_kind:     hidden_global_offset_y
      - .offset:         88
        .size:           8
        .value_kind:     hidden_global_offset_z
      - .offset:         96
        .size:           2
        .value_kind:     hidden_grid_dims
    .group_segment_fixed_size: 0
    .kernarg_segment_align: 8
    .kernarg_segment_size: 288
    .language:       OpenCL C
    .language_version:
      - 2
      - 0
    .max_flat_workgroup_size: 1024
    .name:           _Z20copy_from_fft_outputPVfPKfiii
    .private_segment_fixed_size: 0
    .sgpr_count:     11
    .sgpr_spill_count: 0
    .symbol:         _Z20copy_from_fft_outputPVfPKfiii.kd
    .uniform_work_group_size: 1
    .uses_dynamic_stack: false
    .vgpr_count:     8
    .vgpr_spill_count: 0
    .wavefront_size: 32
  - .args:
      - .address_space:  global
        .offset:         0
        .size:           8
        .value_kind:     global_buffer
      - .address_space:  global
        .offset:         8
        .size:           8
        .value_kind:     global_buffer
      - .address_space:  global
        .offset:         16
        .size:           8
        .value_kind:     global_buffer
      - .address_space:  global
        .offset:         24
        .size:           8
        .value_kind:     global_buffer
      - .address_space:  global
        .offset:         32
        .size:           8
        .value_kind:     global_buffer
      - .address_space:  global
        .offset:         40
        .size:           8
        .value_kind:     global_buffer
      - .offset:         48
        .size:           4
        .value_kind:     by_value
      - .offset:         52
        .size:           4
        .value_kind:     by_value
      - .offset:         56
        .size:           4
        .value_kind:     by_value
      - .offset:         60
        .size:           4
        .value_kind:     by_value
      - .offset:         64
        .size:           4
        .value_kind:     by_value
      - .offset:         72
        .size:           4
        .value_kind:     hidden_block_count_x
      - .offset:         76
        .size:           4
        .value_kind:     hidden_block_count_y
      - .offset:         80
        .size:           4
        .value_kind:     hidden_block_count_z
      - .offset:         84
        .size:           2
        .value_kind:     hidden_group_size_x
      - .offset:         86
        .size:           2
        .value_kind:     hidden_group_size_y
      - .offset:         88
        .size:           2
        .value_kind:     hidden_group_size_z
      - .offset:         90
        .size:           2
        .value_kind:     hidden_remainder_x
      - .offset:         92
        .size:           2
        .value_kind:     hidden_remainder_y
      - .offset:         94
        .size:           2
        .value_kind:     hidden_remainder_z
      - .offset:         112
        .size:           8
        .value_kind:     hidden_global_offset_x
      - .offset:         120
        .size:           8
        .value_kind:     hidden_global_offset_y
      - .offset:         128
        .size:           8
        .value_kind:     hidden_global_offset_z
      - .offset:         136
        .size:           2
        .value_kind:     hidden_grid_dims
    .group_segment_fixed_size: 0
    .kernarg_segment_align: 8
    .kernarg_segment_size: 328
    .language:       OpenCL C
    .language_version:
      - 2
      - 0
    .max_flat_workgroup_size: 1024
    .name:           _Z21compute_point_box_idxPViPVfS2_PKfS4_S4_ffiii
    .private_segment_fixed_size: 0
    .sgpr_count:     16
    .sgpr_spill_count: 0
    .symbol:         _Z21compute_point_box_idxPViPVfS2_PKfS4_S4_ffiii.kd
    .uniform_work_group_size: 1
    .uses_dynamic_stack: false
    .vgpr_count:     15
    .vgpr_spill_count: 0
    .wavefront_size: 32
  - .args:
      - .address_space:  global
        .offset:         0
        .size:           8
        .value_kind:     global_buffer
      - .address_space:  global
        .offset:         8
        .size:           8
        .value_kind:     global_buffer
      - .address_space:  global
        .offset:         16
        .size:           8
        .value_kind:     global_buffer
      - .address_space:  global
        .offset:         24
        .size:           8
        .value_kind:     global_buffer
      - .offset:         32
        .size:           4
        .value_kind:     by_value
      - .offset:         36
        .size:           4
        .value_kind:     by_value
      - .offset:         40
        .size:           4
        .value_kind:     hidden_block_count_x
      - .offset:         44
        .size:           4
        .value_kind:     hidden_block_count_y
      - .offset:         48
        .size:           4
        .value_kind:     hidden_block_count_z
      - .offset:         52
        .size:           2
        .value_kind:     hidden_group_size_x
      - .offset:         54
        .size:           2
        .value_kind:     hidden_group_size_y
      - .offset:         56
        .size:           2
        .value_kind:     hidden_group_size_z
      - .offset:         58
        .size:           2
        .value_kind:     hidden_remainder_x
      - .offset:         60
        .size:           2
        .value_kind:     hidden_remainder_y
      - .offset:         62
        .size:           2
        .value_kind:     hidden_remainder_z
      - .offset:         80
        .size:           8
        .value_kind:     hidden_global_offset_x
      - .offset:         88
        .size:           8
        .value_kind:     hidden_global_offset_y
      - .offset:         96
        .size:           8
        .value_kind:     hidden_global_offset_z
      - .offset:         104
        .size:           2
        .value_kind:     hidden_grid_dims
    .group_segment_fixed_size: 0
    .kernarg_segment_align: 8
    .kernarg_segment_size: 296
    .language:       OpenCL C
    .language_version:
      - 2
      - 0
    .max_flat_workgroup_size: 1024
    .name:           _Z18interpolate_devicePVfPKfS2_S2_ii
    .private_segment_fixed_size: 0
    .sgpr_count:     15
    .sgpr_spill_count: 0
    .symbol:         _Z18interpolate_devicePVfPKfS2_S2_ii.kd
    .uniform_work_group_size: 1
    .uses_dynamic_stack: false
    .vgpr_count:     8
    .vgpr_spill_count: 0
    .wavefront_size: 32
  - .args:
      - .address_space:  global
        .offset:         0
        .size:           8
        .value_kind:     global_buffer
      - .address_space:  global
        .offset:         8
        .size:           8
        .value_kind:     global_buffer
      - .address_space:  global
        .offset:         16
        .size:           8
        .value_kind:     global_buffer
      - .address_space:  global
        .offset:         24
        .size:           8
        .value_kind:     global_buffer
      - .address_space:  global
        .offset:         32
        .size:           8
        .value_kind:     global_buffer
      - .offset:         40
        .size:           4
        .value_kind:     by_value
      - .offset:         44
        .size:           4
        .value_kind:     by_value
      - .offset:         48
        .size:           4
        .value_kind:     by_value
      - .offset:         52
        .size:           4
        .value_kind:     by_value
      - .offset:         56
        .size:           4
        .value_kind:     hidden_block_count_x
      - .offset:         60
        .size:           4
        .value_kind:     hidden_block_count_y
      - .offset:         64
        .size:           4
        .value_kind:     hidden_block_count_z
      - .offset:         68
        .size:           2
        .value_kind:     hidden_group_size_x
      - .offset:         70
        .size:           2
        .value_kind:     hidden_group_size_y
      - .offset:         72
        .size:           2
        .value_kind:     hidden_group_size_z
      - .offset:         74
        .size:           2
        .value_kind:     hidden_remainder_x
      - .offset:         76
        .size:           2
        .value_kind:     hidden_remainder_y
      - .offset:         78
        .size:           2
        .value_kind:     hidden_remainder_z
      - .offset:         96
        .size:           8
        .value_kind:     hidden_global_offset_x
      - .offset:         104
        .size:           8
        .value_kind:     hidden_global_offset_y
      - .offset:         112
        .size:           8
        .value_kind:     hidden_global_offset_z
      - .offset:         120
        .size:           2
        .value_kind:     hidden_grid_dims
    .group_segment_fixed_size: 0
    .kernarg_segment_align: 8
    .kernarg_segment_size: 312
    .language:       OpenCL C
    .language_version:
      - 2
      - 0
    .max_flat_workgroup_size: 1024
    .name:           _Z28compute_interpolated_indicesPfPKiPKfS3_S3_iiii
    .private_segment_fixed_size: 0
    .sgpr_count:     18
    .sgpr_spill_count: 0
    .symbol:         _Z28compute_interpolated_indicesPfPKiPKfS3_S3_iiii.kd
    .uniform_work_group_size: 1
    .uses_dynamic_stack: false
    .vgpr_count:     11
    .vgpr_spill_count: 0
    .wavefront_size: 32
  - .args:
      - .address_space:  global
        .offset:         0
        .size:           8
        .value_kind:     global_buffer
      - .address_space:  global
        .offset:         8
        .size:           8
        .value_kind:     global_buffer
      - .address_space:  global
        .offset:         16
        .size:           8
        .value_kind:     global_buffer
      - .address_space:  global
        .offset:         24
        .size:           8
        .value_kind:     global_buffer
      - .address_space:  global
        .offset:         32
        .size:           8
        .value_kind:     global_buffer
      - .offset:         40
        .size:           4
        .value_kind:     by_value
      - .offset:         44
        .size:           4
        .value_kind:     by_value
      - .offset:         48
        .size:           4
        .value_kind:     by_value
      - .offset:         52
        .size:           4
        .value_kind:     by_value
      - .offset:         56
        .size:           4
        .value_kind:     hidden_block_count_x
      - .offset:         60
        .size:           4
        .value_kind:     hidden_block_count_y
      - .offset:         64
        .size:           4
        .value_kind:     hidden_block_count_z
      - .offset:         68
        .size:           2
        .value_kind:     hidden_group_size_x
      - .offset:         70
        .size:           2
        .value_kind:     hidden_group_size_y
      - .offset:         72
        .size:           2
        .value_kind:     hidden_group_size_z
      - .offset:         74
        .size:           2
        .value_kind:     hidden_remainder_x
      - .offset:         76
        .size:           2
        .value_kind:     hidden_remainder_y
      - .offset:         78
        .size:           2
        .value_kind:     hidden_remainder_z
      - .offset:         96
        .size:           8
        .value_kind:     hidden_global_offset_x
      - .offset:         104
        .size:           8
        .value_kind:     hidden_global_offset_y
      - .offset:         112
        .size:           8
        .value_kind:     hidden_global_offset_z
      - .offset:         120
        .size:           2
        .value_kind:     hidden_grid_dims
    .group_segment_fixed_size: 0
    .kernarg_segment_align: 8
    .kernarg_segment_size: 312
    .language:       OpenCL C
    .language_version:
      - 2
      - 0
    .max_flat_workgroup_size: 1024
    .name:           _Z25compute_potential_indicesPfPKiPKfS3_S3_iiii
    .private_segment_fixed_size: 0
    .sgpr_count:     19
    .sgpr_spill_count: 0
    .symbol:         _Z25compute_potential_indicesPfPKiPKfS3_S3_iiii.kd
    .uniform_work_group_size: 1
    .uses_dynamic_stack: false
    .vgpr_count:     13
    .vgpr_spill_count: 0
    .wavefront_size: 32
  - .args:
      - .address_space:  global
        .offset:         0
        .size:           8
        .value_kind:     global_buffer
      - .offset:         8
        .size:           4
        .value_kind:     by_value
      - .offset:         12
        .size:           4
        .value_kind:     by_value
      - .offset:         16
        .size:           4
        .value_kind:     by_value
      - .offset:         20
        .size:           4
        .value_kind:     by_value
      - .offset:         24
        .size:           4
        .value_kind:     by_value
      - .offset:         32
        .size:           4
        .value_kind:     hidden_block_count_x
      - .offset:         36
        .size:           4
        .value_kind:     hidden_block_count_y
      - .offset:         40
        .size:           4
        .value_kind:     hidden_block_count_z
      - .offset:         44
        .size:           2
        .value_kind:     hidden_group_size_x
      - .offset:         46
        .size:           2
        .value_kind:     hidden_group_size_y
      - .offset:         48
        .size:           2
        .value_kind:     hidden_group_size_z
      - .offset:         50
        .size:           2
        .value_kind:     hidden_remainder_x
      - .offset:         52
        .size:           2
        .value_kind:     hidden_remainder_y
      - .offset:         54
        .size:           2
        .value_kind:     hidden_remainder_z
      - .offset:         72
        .size:           8
        .value_kind:     hidden_global_offset_x
      - .offset:         80
        .size:           8
        .value_kind:     hidden_global_offset_y
      - .offset:         88
        .size:           8
        .value_kind:     hidden_global_offset_z
      - .offset:         96
        .size:           2
        .value_kind:     hidden_grid_dims
    .group_segment_fixed_size: 0
    .kernarg_segment_align: 8
    .kernarg_segment_size: 288
    .language:       OpenCL C
    .language_version:
      - 2
      - 0
    .max_flat_workgroup_size: 1024
    .name:           _Z20compute_kernel_tildePVffffii
    .private_segment_fixed_size: 0
    .sgpr_count:     12
    .sgpr_spill_count: 0
    .symbol:         _Z20compute_kernel_tildePVffffii.kd
    .uniform_work_group_size: 1
    .uses_dynamic_stack: false
    .vgpr_count:     20
    .vgpr_spill_count: 0
    .wavefront_size: 32
  - .args:
      - .address_space:  global
        .offset:         0
        .size:           8
        .value_kind:     global_buffer
      - .address_space:  global
        .offset:         8
        .size:           8
        .value_kind:     global_buffer
      - .offset:         16
        .size:           4
        .value_kind:     by_value
      - .offset:         20
        .size:           4
        .value_kind:     by_value
      - .offset:         24
        .size:           4
        .value_kind:     by_value
      - .offset:         28
        .size:           4
        .value_kind:     by_value
      - .offset:         32
        .size:           4
        .value_kind:     by_value
      - .offset:         40
        .size:           4
        .value_kind:     hidden_block_count_x
      - .offset:         44
        .size:           4
        .value_kind:     hidden_block_count_y
      - .offset:         48
        .size:           4
        .value_kind:     hidden_block_count_z
      - .offset:         52
        .size:           2
        .value_kind:     hidden_group_size_x
      - .offset:         54
        .size:           2
        .value_kind:     hidden_group_size_y
      - .offset:         56
        .size:           2
        .value_kind:     hidden_group_size_z
      - .offset:         58
        .size:           2
        .value_kind:     hidden_remainder_x
      - .offset:         60
        .size:           2
        .value_kind:     hidden_remainder_y
      - .offset:         62
        .size:           2
        .value_kind:     hidden_remainder_z
      - .offset:         80
        .size:           8
        .value_kind:     hidden_global_offset_x
      - .offset:         88
        .size:           8
        .value_kind:     hidden_global_offset_y
      - .offset:         96
        .size:           8
        .value_kind:     hidden_global_offset_z
      - .offset:         104
        .size:           2
        .value_kind:     hidden_grid_dims
    .group_segment_fixed_size: 0
    .kernarg_segment_align: 8
    .kernarg_segment_size: 296
    .language:       OpenCL C
    .language_version:
      - 2
      - 0
    .max_flat_workgroup_size: 1024
    .name:           _Z30compute_upper_and_lower_boundsPVfS0_fffii
    .private_segment_fixed_size: 0
    .sgpr_count:     14
    .sgpr_spill_count: 0
    .symbol:         _Z30compute_upper_and_lower_boundsPVfS0_fffii.kd
    .uniform_work_group_size: 1
    .uses_dynamic_stack: false
    .vgpr_count:     6
    .vgpr_spill_count: 0
    .wavefront_size: 32
  - .args:
      - .address_space:  global
        .offset:         0
        .size:           8
        .value_kind:     global_buffer
      - .address_space:  global
        .offset:         8
        .size:           8
        .value_kind:     global_buffer
      - .offset:         16
        .size:           4
        .value_kind:     by_value
      - .offset:         20
        .size:           4
        .value_kind:     by_value
      - .offset:         24
        .size:           4
        .value_kind:     hidden_block_count_x
      - .offset:         28
        .size:           4
        .value_kind:     hidden_block_count_y
      - .offset:         32
        .size:           4
        .value_kind:     hidden_block_count_z
      - .offset:         36
        .size:           2
        .value_kind:     hidden_group_size_x
      - .offset:         38
        .size:           2
        .value_kind:     hidden_group_size_y
      - .offset:         40
        .size:           2
        .value_kind:     hidden_group_size_z
      - .offset:         42
        .size:           2
        .value_kind:     hidden_remainder_x
      - .offset:         44
        .size:           2
        .value_kind:     hidden_remainder_y
      - .offset:         46
        .size:           2
        .value_kind:     hidden_remainder_z
      - .offset:         64
        .size:           8
        .value_kind:     hidden_global_offset_x
      - .offset:         72
        .size:           8
        .value_kind:     hidden_global_offset_y
      - .offset:         80
        .size:           8
        .value_kind:     hidden_global_offset_z
      - .offset:         88
        .size:           2
        .value_kind:     hidden_grid_dims
    .group_segment_fixed_size: 0
    .kernarg_segment_align: 8
    .kernarg_segment_size: 280
    .language:       OpenCL C
    .language_version:
      - 2
      - 0
    .max_flat_workgroup_size: 1024
    .name:           _Z9DFT2D1gpuPfPN6thrust23THRUST_200600_302600_NS7complexIfEEii
    .private_segment_fixed_size: 0
    .sgpr_count:     17
    .sgpr_spill_count: 0
    .symbol:         _Z9DFT2D1gpuPfPN6thrust23THRUST_200600_302600_NS7complexIfEEii.kd
    .uniform_work_group_size: 1
    .uses_dynamic_stack: false
    .vgpr_count:     24
    .vgpr_spill_count: 0
    .wavefront_size: 32
  - .args:
      - .address_space:  global
        .offset:         0
        .size:           8
        .value_kind:     global_buffer
      - .address_space:  global
        .offset:         8
        .size:           8
        .value_kind:     global_buffer
      - .offset:         16
        .size:           4
        .value_kind:     by_value
      - .offset:         20
        .size:           4
        .value_kind:     by_value
      - .offset:         24
        .size:           4
        .value_kind:     hidden_block_count_x
      - .offset:         28
        .size:           4
        .value_kind:     hidden_block_count_y
      - .offset:         32
        .size:           4
        .value_kind:     hidden_block_count_z
      - .offset:         36
        .size:           2
        .value_kind:     hidden_group_size_x
      - .offset:         38
        .size:           2
        .value_kind:     hidden_group_size_y
      - .offset:         40
        .size:           2
        .value_kind:     hidden_group_size_z
      - .offset:         42
        .size:           2
        .value_kind:     hidden_remainder_x
      - .offset:         44
        .size:           2
        .value_kind:     hidden_remainder_y
      - .offset:         46
        .size:           2
        .value_kind:     hidden_remainder_z
      - .offset:         64
        .size:           8
        .value_kind:     hidden_global_offset_x
      - .offset:         72
        .size:           8
        .value_kind:     hidden_global_offset_y
      - .offset:         80
        .size:           8
        .value_kind:     hidden_global_offset_z
      - .offset:         88
        .size:           2
        .value_kind:     hidden_grid_dims
    .group_segment_fixed_size: 0
    .kernarg_segment_align: 8
    .kernarg_segment_size: 280
    .language:       OpenCL C
    .language_version:
      - 2
      - 0
    .max_flat_workgroup_size: 1024
    .name:           _Z9DFT2D2gpuPN6thrust23THRUST_200600_302600_NS7complexIfEES3_ii
    .private_segment_fixed_size: 0
    .sgpr_count:     17
    .sgpr_spill_count: 0
    .symbol:         _Z9DFT2D2gpuPN6thrust23THRUST_200600_302600_NS7complexIfEES3_ii.kd
    .uniform_work_group_size: 1
    .uses_dynamic_stack: false
    .vgpr_count:     24
    .vgpr_spill_count: 0
    .wavefront_size: 32
  - .args:
      - .address_space:  global
        .offset:         0
        .size:           8
        .value_kind:     global_buffer
      - .address_space:  global
        .offset:         8
        .size:           8
        .value_kind:     global_buffer
      - .offset:         16
        .size:           4
        .value_kind:     by_value
      - .offset:         20
        .size:           4
        .value_kind:     by_value
      - .offset:         24
        .size:           4
        .value_kind:     hidden_block_count_x
      - .offset:         28
        .size:           4
        .value_kind:     hidden_block_count_y
      - .offset:         32
        .size:           4
        .value_kind:     hidden_block_count_z
      - .offset:         36
        .size:           2
        .value_kind:     hidden_group_size_x
      - .offset:         38
        .size:           2
        .value_kind:     hidden_group_size_y
      - .offset:         40
        .size:           2
        .value_kind:     hidden_group_size_z
      - .offset:         42
        .size:           2
        .value_kind:     hidden_remainder_x
      - .offset:         44
        .size:           2
        .value_kind:     hidden_remainder_y
      - .offset:         46
        .size:           2
        .value_kind:     hidden_remainder_z
      - .offset:         64
        .size:           8
        .value_kind:     hidden_global_offset_x
      - .offset:         72
        .size:           8
        .value_kind:     hidden_global_offset_y
      - .offset:         80
        .size:           8
        .value_kind:     hidden_global_offset_z
      - .offset:         88
        .size:           2
        .value_kind:     hidden_grid_dims
    .group_segment_fixed_size: 0
    .kernarg_segment_align: 8
    .kernarg_segment_size: 280
    .language:       OpenCL C
    .language_version:
      - 2
      - 0
    .max_flat_workgroup_size: 1024
    .name:           _Z10iDFT2D1gpuPN6thrust23THRUST_200600_302600_NS7complexIfEES3_ii
    .private_segment_fixed_size: 0
    .sgpr_count:     22
    .sgpr_spill_count: 0
    .symbol:         _Z10iDFT2D1gpuPN6thrust23THRUST_200600_302600_NS7complexIfEES3_ii.kd
    .uniform_work_group_size: 1
    .uses_dynamic_stack: false
    .vgpr_count:     24
    .vgpr_spill_count: 0
    .wavefront_size: 32
  - .args:
      - .address_space:  global
        .offset:         0
        .size:           8
        .value_kind:     global_buffer
      - .address_space:  global
        .offset:         8
        .size:           8
        .value_kind:     global_buffer
      - .offset:         16
        .size:           4
        .value_kind:     by_value
      - .offset:         20
        .size:           4
        .value_kind:     by_value
      - .offset:         24
        .size:           4
        .value_kind:     hidden_block_count_x
      - .offset:         28
        .size:           4
        .value_kind:     hidden_block_count_y
      - .offset:         32
        .size:           4
        .value_kind:     hidden_block_count_z
      - .offset:         36
        .size:           2
        .value_kind:     hidden_group_size_x
      - .offset:         38
        .size:           2
        .value_kind:     hidden_group_size_y
      - .offset:         40
        .size:           2
        .value_kind:     hidden_group_size_z
      - .offset:         42
        .size:           2
        .value_kind:     hidden_remainder_x
      - .offset:         44
        .size:           2
        .value_kind:     hidden_remainder_y
      - .offset:         46
        .size:           2
        .value_kind:     hidden_remainder_z
      - .offset:         64
        .size:           8
        .value_kind:     hidden_global_offset_x
      - .offset:         72
        .size:           8
        .value_kind:     hidden_global_offset_y
      - .offset:         80
        .size:           8
        .value_kind:     hidden_global_offset_z
      - .offset:         88
        .size:           2
        .value_kind:     hidden_grid_dims
    .group_segment_fixed_size: 0
    .kernarg_segment_align: 8
    .kernarg_segment_size: 280
    .language:       OpenCL C
    .language_version:
      - 2
      - 0
    .max_flat_workgroup_size: 1024
    .name:           _Z10iDFT2D2gpuPN6thrust23THRUST_200600_302600_NS7complexIfEEPfii
    .private_segment_fixed_size: 0
    .sgpr_count:     17
    .sgpr_spill_count: 0
    .symbol:         _Z10iDFT2D2gpuPN6thrust23THRUST_200600_302600_NS7complexIfEEPfii.kd
    .uniform_work_group_size: 1
    .uses_dynamic_stack: false
    .vgpr_count:     24
    .vgpr_spill_count: 0
    .wavefront_size: 32
amdhsa.target:   amdgcn-amd-amdhsa--gfx1250
amdhsa.version:
  - 1
  - 2
...

	.end_amdgpu_metadata
